;; amdgpu-corpus repo=ROCm/rocFFT kind=compiled arch=gfx1030 opt=O3
	.text
	.amdgcn_target "amdgcn-amd-amdhsa--gfx1030"
	.amdhsa_code_object_version 6
	.protected	bluestein_single_back_len833_dim1_dp_op_CI_CI ; -- Begin function bluestein_single_back_len833_dim1_dp_op_CI_CI
	.globl	bluestein_single_back_len833_dim1_dp_op_CI_CI
	.p2align	8
	.type	bluestein_single_back_len833_dim1_dp_op_CI_CI,@function
bluestein_single_back_len833_dim1_dp_op_CI_CI: ; @bluestein_single_back_len833_dim1_dp_op_CI_CI
; %bb.0:
	v_mul_u32_u24_e32 v1, 0x227, v0
	s_mov_b64 s[58:59], s[2:3]
	s_mov_b64 s[56:57], s[0:1]
	s_load_dwordx4 s[0:3], s[4:5], 0x28
	s_add_u32 s56, s56, s7
	v_lshrrev_b32_e32 v1, 16, v1
	s_addc_u32 s57, s57, 0
	v_mov_b32_e32 v4, 0
	v_add_nc_u32_e32 v3, s6, v1
	v_mov_b32_e32 v2, v3
	buffer_store_dword v2, off, s[56:59], 0 ; 4-byte Folded Spill
	buffer_store_dword v3, off, s[56:59], 0 offset:4 ; 4-byte Folded Spill
	s_waitcnt lgkmcnt(0)
	v_cmp_gt_u64_e32 vcc_lo, s[0:1], v[3:4]
	s_and_saveexec_b32 s0, vcc_lo
	s_cbranch_execz .LBB0_15
; %bb.1:
	s_clause 0x1
	s_load_dwordx2 s[12:13], s[4:5], 0x0
	s_load_dwordx2 s[14:15], s[4:5], 0x38
	v_mul_lo_u16 v1, 0x77, v1
	v_sub_nc_u16 v0, v0, v1
	v_and_b32_e32 v128, 0xffff, v0
	v_cmp_gt_u16_e32 vcc_lo, 49, v0
	v_lshlrev_b32_e32 v255, 4, v128
	s_and_saveexec_b32 s1, vcc_lo
	s_cbranch_execz .LBB0_3
; %bb.2:
	s_load_dwordx2 s[6:7], s[4:5], 0x18
	s_waitcnt lgkmcnt(0)
	global_load_dwordx4 v[0:3], v255, s[12:13]
	v_add_co_u32 v14, s0, s12, v255
	v_add_co_ci_u32_e64 v15, null, s13, 0, s0
	v_add_co_u32 v20, s0, 0x800, v14
	v_add_co_ci_u32_e64 v21, s0, 0, v15, s0
	v_add_co_u32 v28, s0, 0x1000, v14
	v_add_co_ci_u32_e64 v29, s0, 0, v15, s0
	;; [unrolled: 2-line block ×3, first 2 shown]
	v_add_co_u32 v129, s0, 0x3000, v14
	s_load_dwordx4 s[8:11], s[6:7], 0x0
	s_clause 0x1
	global_load_dwordx4 v[4:7], v255, s[12:13] offset:784
	global_load_dwordx4 v[8:11], v255, s[12:13] offset:1568
	s_clause 0x1
	buffer_load_dword v12, off, s[56:59], 0
	buffer_load_dword v13, off, s[56:59], 0 offset:4
	v_add_co_ci_u32_e64 v130, s0, 0, v15, s0
	v_add_co_u32 v52, s0, 0x2000, v14
	v_add_co_ci_u32_e64 v53, s0, 0, v15, s0
	v_add_co_u32 v120, s0, 0x2800, v14
	v_add_co_ci_u32_e64 v121, s0, 0, v15, s0
	s_waitcnt lgkmcnt(0)
	v_mad_u64_u32 v[44:45], null, s8, v128, 0
	s_mul_i32 s6, s9, 0x310
	s_mul_hi_u32 s7, s8, 0x310
	s_add_i32 s7, s7, s6
	s_waitcnt vmcnt(0)
	v_mov_b32_e32 v13, v45
	v_mad_u64_u32 v[45:46], null, s9, v128, v[13:14]
	v_lshlrev_b64 v[44:45], 4, v[44:45]
	v_mov_b32_e32 v16, v12
	v_mad_u64_u32 v[40:41], null, s10, v16, 0
	v_mov_b32_e32 v12, v41
	v_mad_u64_u32 v[24:25], null, s11, v16, v[12:13]
	s_clause 0x2
	global_load_dwordx4 v[12:15], v[20:21], off offset:304
	global_load_dwordx4 v[16:19], v[20:21], off offset:1088
	;; [unrolled: 1-line block ×3, first 2 shown]
	v_mov_b32_e32 v41, v24
	s_clause 0x3
	global_load_dwordx4 v[24:27], v[28:29], off offset:608
	global_load_dwordx4 v[28:31], v[28:29], off offset:1392
	;; [unrolled: 1-line block ×4, first 2 shown]
	v_lshlrev_b64 v[46:47], 4, v[40:41]
	global_load_dwordx4 v[40:43], v[42:43], off offset:1696
	v_add_co_u32 v46, s0, s2, v46
	v_add_co_ci_u32_e64 v47, s0, s3, v47, s0
	s_mul_i32 s2, s8, 0x310
	v_add_co_u32 v56, s0, v46, v44
	v_add_co_ci_u32_e64 v57, s0, v47, v45, s0
	s_clause 0x1
	global_load_dwordx4 v[44:47], v[52:53], off offset:432
	global_load_dwordx4 v[48:51], v[52:53], off offset:1216
	v_add_co_u32 v60, s0, v56, s2
	v_add_co_ci_u32_e64 v61, s0, s7, v57, s0
	global_load_dwordx4 v[52:55], v[52:53], off offset:2000
	v_add_co_u32 v64, s0, v60, s2
	v_add_co_ci_u32_e64 v65, s0, s7, v61, s0
	s_clause 0x1
	global_load_dwordx4 v[56:59], v[56:57], off
	global_load_dwordx4 v[60:63], v[60:61], off
	v_add_co_u32 v68, s0, v64, s2
	v_add_co_ci_u32_e64 v69, s0, s7, v65, s0
	v_add_co_u32 v72, s0, v68, s2
	v_add_co_ci_u32_e64 v73, s0, s7, v69, s0
	s_clause 0x1
	global_load_dwordx4 v[64:67], v[64:65], off
	global_load_dwordx4 v[68:71], v[68:69], off
	v_add_co_u32 v76, s0, v72, s2
	v_add_co_ci_u32_e64 v77, s0, s7, v73, s0
	global_load_dwordx4 v[72:75], v[72:73], off
	v_add_co_u32 v80, s0, v76, s2
	v_add_co_ci_u32_e64 v81, s0, s7, v77, s0
	;; [unrolled: 3-line block ×12, first 2 shown]
	s_clause 0x1
	global_load_dwordx4 v[116:119], v[120:121], off offset:736
	global_load_dwordx4 v[120:123], v[120:121], off offset:1520
	global_load_dwordx4 v[124:127], v[124:125], off
	global_load_dwordx4 v[129:132], v[129:130], off offset:256
	global_load_dwordx4 v[133:136], v[133:134], off
	s_waitcnt vmcnt(19)
	v_mul_f64 v[137:138], v[58:59], v[2:3]
	v_mul_f64 v[2:3], v[56:57], v[2:3]
	s_waitcnt vmcnt(18)
	v_mul_f64 v[139:140], v[62:63], v[6:7]
	v_mul_f64 v[6:7], v[60:61], v[6:7]
	;; [unrolled: 3-line block ×6, first 2 shown]
	v_fma_f64 v[56:57], v[56:57], v[0:1], v[137:138]
	v_fma_f64 v[58:59], v[58:59], v[0:1], -v[2:3]
	v_fma_f64 v[0:1], v[60:61], v[4:5], v[139:140]
	s_waitcnt vmcnt(13)
	v_mul_f64 v[60:61], v[82:83], v[26:27]
	v_mul_f64 v[26:27], v[80:81], v[26:27]
	v_fma_f64 v[2:3], v[62:63], v[4:5], -v[6:7]
	s_waitcnt vmcnt(12)
	v_mul_f64 v[62:63], v[86:87], v[30:31]
	v_mul_f64 v[30:31], v[84:85], v[30:31]
	v_fma_f64 v[4:5], v[64:65], v[8:9], v[141:142]
	v_fma_f64 v[6:7], v[66:67], v[8:9], -v[10:11]
	v_fma_f64 v[8:9], v[68:69], v[12:13], v[143:144]
	s_waitcnt vmcnt(11)
	v_mul_f64 v[64:65], v[90:91], v[34:35]
	v_mul_f64 v[34:35], v[88:89], v[34:35]
	v_fma_f64 v[10:11], v[70:71], v[12:13], -v[14:15]
	v_fma_f64 v[12:13], v[72:73], v[16:17], v[145:146]
	v_fma_f64 v[14:15], v[74:75], v[16:17], -v[18:19]
	s_waitcnt vmcnt(10)
	v_mul_f64 v[66:67], v[94:95], v[38:39]
	v_mul_f64 v[38:39], v[92:93], v[38:39]
	v_fma_f64 v[16:17], v[76:77], v[20:21], v[147:148]
	v_fma_f64 v[18:19], v[78:79], v[20:21], -v[22:23]
	s_waitcnt vmcnt(9)
	v_mul_f64 v[68:69], v[98:99], v[42:43]
	v_mul_f64 v[42:43], v[96:97], v[42:43]
	;; [unrolled: 5-line block ×6, first 2 shown]
	s_waitcnt vmcnt(2)
	v_mul_f64 v[118:119], v[126:127], v[122:123]
	v_mul_f64 v[122:123], v[124:125], v[122:123]
	s_waitcnt vmcnt(0)
	v_mul_f64 v[137:138], v[135:136], v[131:132]
	v_mul_f64 v[131:132], v[133:134], v[131:132]
	v_fma_f64 v[36:37], v[96:97], v[40:41], v[68:69]
	v_fma_f64 v[38:39], v[98:99], v[40:41], -v[42:43]
	v_fma_f64 v[40:41], v[100:101], v[44:45], v[70:71]
	v_fma_f64 v[42:43], v[102:103], v[44:45], -v[46:47]
	;; [unrolled: 2-line block ×7, first 2 shown]
	ds_write_b128 v255, v[56:59]
	ds_write_b128 v255, v[0:3] offset:784
	ds_write_b128 v255, v[4:7] offset:1568
	;; [unrolled: 1-line block ×16, first 2 shown]
.LBB0_3:
	s_or_b32 exec_lo, exec_lo, s1
	s_clause 0x1
	s_load_dwordx2 s[2:3], s[4:5], 0x20
	s_load_dwordx2 s[0:1], s[4:5], 0x8
	s_waitcnt lgkmcnt(0)
	s_waitcnt_vscnt null, 0x0
	s_barrier
	buffer_gl0_inv
                                        ; implicit-def: $vgpr40_vgpr41
                                        ; implicit-def: $vgpr60_vgpr61
                                        ; implicit-def: $vgpr64_vgpr65
                                        ; implicit-def: $vgpr72_vgpr73
                                        ; implicit-def: $vgpr76_vgpr77
                                        ; implicit-def: $vgpr80_vgpr81
                                        ; implicit-def: $vgpr84_vgpr85
                                        ; implicit-def: $vgpr88_vgpr89
                                        ; implicit-def: $vgpr96_vgpr97
                                        ; implicit-def: $vgpr100_vgpr101
                                        ; implicit-def: $vgpr104_vgpr105
                                        ; implicit-def: $vgpr92_vgpr93
                                        ; implicit-def: $vgpr52_vgpr53
                                        ; implicit-def: $vgpr48_vgpr49
                                        ; implicit-def: $vgpr44_vgpr45
                                        ; implicit-def: $vgpr36_vgpr37
                                        ; implicit-def: $vgpr32_vgpr33
	s_and_saveexec_b32 s4, vcc_lo
	s_cbranch_execz .LBB0_5
; %bb.4:
	ds_read_b128 v[40:43], v255
	ds_read_b128 v[60:63], v255 offset:784
	ds_read_b128 v[64:67], v255 offset:1568
	;; [unrolled: 1-line block ×16, first 2 shown]
.LBB0_5:
	s_or_b32 exec_lo, exec_lo, s4
	s_waitcnt lgkmcnt(0)
	v_add_f64 v[56:57], v[62:63], -v[34:35]
	v_add_f64 v[58:59], v[60:61], -v[32:33]
	s_mov_b32 s24, 0x5d8e7cdc
	s_mov_b32 s25, 0xbfd71e95
	v_add_f64 v[70:71], v[66:67], -v[38:39]
	v_add_f64 v[68:69], v[64:65], -v[36:37]
	s_mov_b32 s26, 0x2a9d6da3
	s_mov_b32 s27, 0xbfe58eea
	;; [unrolled: 4-line block ×3, first 2 shown]
	v_add_f64 v[133:134], v[60:61], v[32:33]
	v_add_f64 v[137:138], v[62:63], v[34:35]
	s_mov_b32 s4, 0x370991
	s_mov_b32 s5, 0x3fedd6d0
	v_add_f64 v[108:109], v[64:65], v[36:37]
	v_add_f64 v[110:111], v[66:67], v[38:39]
	s_mov_b32 s6, 0x75d4884
	s_mov_b32 s7, 0x3fe7a5f6
	v_add_f64 v[118:119], v[74:75], v[46:47]
	s_mov_b32 s8, 0x2b2883cd
	v_mul_f64 v[0:1], v[56:57], s[24:25]
	v_mul_f64 v[2:3], v[58:59], s[24:25]
	s_mov_b32 s9, 0x3fdc86fa
	v_add_f64 v[223:224], v[78:79], -v[50:51]
	v_mul_f64 v[4:5], v[70:71], s[26:27]
	v_mul_f64 v[6:7], v[68:69], s[26:27]
	v_add_f64 v[225:226], v[76:77], -v[48:49]
	s_mov_b32 s34, 0xeb564b22
	v_mul_f64 v[8:9], v[219:220], s[36:37]
	v_mul_f64 v[10:11], v[221:222], s[36:37]
	s_mov_b32 s35, 0xbfefdd0d
	v_add_f64 v[129:130], v[78:79], v[50:51]
	s_mov_b32 s10, 0x3259b75e
	s_mov_b32 s11, 0x3fb79ee6
	v_add_f64 v[227:228], v[82:83], -v[54:55]
	s_mov_b32 s28, 0x923c349f
	s_mov_b32 s29, 0xbfeec746
	v_add_f64 v[114:115], v[72:73], v[44:45]
	v_add_f64 v[126:127], v[76:77], v[48:49]
	;; [unrolled: 1-line block ×3, first 2 shown]
	s_mov_b32 s16, 0xc61f0d01
	s_mov_b32 s17, 0xbfd183b1
	buffer_store_dword v0, off, s[56:59], 0 offset:56 ; 4-byte Folded Spill
	buffer_store_dword v1, off, s[56:59], 0 offset:60 ; 4-byte Folded Spill
	;; [unrolled: 1-line block ×12, first 2 shown]
	v_mul_f64 v[12:13], v[223:224], s[34:35]
	buffer_store_dword v12, off, s[56:59], 0 offset:40 ; 4-byte Folded Spill
	buffer_store_dword v13, off, s[56:59], 0 offset:44 ; 4-byte Folded Spill
	v_add_f64 v[229:230], v[80:81], -v[52:53]
	v_add_f64 v[147:148], v[82:83], v[54:55]
	v_add_f64 v[231:232], v[86:87], -v[94:95]
	s_mov_b32 s30, 0x6c9a05f6
	s_mov_b32 s31, 0xbfe9895b
	v_add_f64 v[151:152], v[84:85], v[92:93]
	s_mov_b32 s18, 0x6ed5f1bb
	s_mov_b32 s19, 0xbfe348c8
	v_add_f64 v[233:234], v[84:85], -v[92:93]
	v_add_f64 v[155:156], v[86:87], v[94:95]
	v_add_f64 v[235:236], v[90:91], -v[106:107]
	s_mov_b32 s38, 0x4363dd80
	s_mov_b32 s39, 0xbfe0d888
	v_add_f64 v[167:168], v[88:89], v[104:105]
	s_mov_b32 s20, 0x910ea3b9
	s_mov_b32 s21, 0xbfeb34fa
	v_add_f64 v[237:238], v[88:89], -v[104:105]
	v_add_f64 v[171:172], v[90:91], v[106:107]
	v_add_f64 v[239:240], v[98:99], -v[102:103]
	s_mov_b32 s40, 0xacd6c6b4
	s_mov_b32 s41, 0xbfc7851a
	v_add_f64 v[159:160], v[96:97], v[100:101]
	s_mov_b32 s22, 0x7faef3
	s_mov_b32 s23, 0xbfef7484
	v_add_f64 v[241:242], v[96:97], -v[100:101]
	v_add_f64 v[163:164], v[98:99], v[102:103]
	s_mov_b32 s51, 0x3fe0d888
	s_mov_b32 s50, s38
	;; [unrolled: 1-line block ×10, first 2 shown]
	v_mul_f64 v[169:170], v[56:57], s[34:35]
	v_mul_f64 v[177:178], v[58:59], s[34:35]
	s_mov_b32 s53, 0x3fe9895b
	s_mov_b32 s52, s30
	v_mul_f64 v[191:192], v[56:57], s[28:29]
	v_mul_f64 v[197:198], v[58:59], s[28:29]
	;; [unrolled: 1-line block ×32, first 2 shown]
	v_fma_f64 v[22:23], v[108:109], s[16:17], v[183:184]
	v_mul_f64 v[122:123], v[231:232], s[40:41]
	v_fma_f64 v[24:25], v[110:111], s[16:17], -v[189:190]
	v_mul_f64 v[135:136], v[239:240], s[28:29]
	v_fma_f64 v[28:29], v[108:109], s[8:9], -v[243:244]
	v_fma_f64 v[30:31], v[110:111], s[8:9], v[247:248]
	v_fma_f64 v[0:1], v[133:134], s[4:5], v[0:1]
	v_fma_f64 v[2:3], v[137:138], s[4:5], -v[2:3]
	v_fma_f64 v[4:5], v[108:109], s[6:7], v[4:5]
	v_fma_f64 v[6:7], v[110:111], s[6:7], -v[6:7]
	v_fma_f64 v[8:9], v[114:115], s[8:9], v[8:9]
	v_add_f64 v[0:1], v[40:41], v[0:1]
	v_add_f64 v[2:3], v[42:43], v[2:3]
	;; [unrolled: 1-line block ×3, first 2 shown]
	v_fma_f64 v[4:5], v[118:119], s[8:9], -v[10:11]
	v_add_f64 v[2:3], v[6:7], v[2:3]
	v_fma_f64 v[6:7], v[126:127], s[10:11], v[12:13]
	v_add_f64 v[0:1], v[8:9], v[0:1]
	v_add_f64 v[2:3], v[4:5], v[2:3]
	v_mul_f64 v[4:5], v[225:226], s[34:35]
	buffer_store_dword v4, off, s[56:59], 0 offset:48 ; 4-byte Folded Spill
	buffer_store_dword v5, off, s[56:59], 0 offset:52 ; 4-byte Folded Spill
	v_add_f64 v[0:1], v[6:7], v[0:1]
	v_fma_f64 v[4:5], v[129:130], s[10:11], -v[4:5]
	v_add_f64 v[2:3], v[4:5], v[2:3]
	v_mul_f64 v[4:5], v[227:228], s[28:29]
	buffer_store_dword v4, off, s[56:59], 0 offset:72 ; 4-byte Folded Spill
	buffer_store_dword v5, off, s[56:59], 0 offset:76 ; 4-byte Folded Spill
	v_fma_f64 v[4:5], v[143:144], s[16:17], v[4:5]
	v_add_f64 v[0:1], v[4:5], v[0:1]
	v_mul_f64 v[4:5], v[229:230], s[28:29]
	buffer_store_dword v4, off, s[56:59], 0 offset:80 ; 4-byte Folded Spill
	buffer_store_dword v5, off, s[56:59], 0 offset:84 ; 4-byte Folded Spill
	v_fma_f64 v[4:5], v[147:148], s[16:17], -v[4:5]
	v_add_f64 v[2:3], v[4:5], v[2:3]
	v_mul_f64 v[4:5], v[231:232], s[30:31]
	buffer_store_dword v4, off, s[56:59], 0 offset:88 ; 4-byte Folded Spill
	buffer_store_dword v5, off, s[56:59], 0 offset:92 ; 4-byte Folded Spill
	v_fma_f64 v[4:5], v[151:152], s[18:19], v[4:5]
	v_add_f64 v[0:1], v[4:5], v[0:1]
	v_mul_f64 v[4:5], v[233:234], s[30:31]
	buffer_store_dword v4, off, s[56:59], 0 offset:96 ; 4-byte Folded Spill
	buffer_store_dword v5, off, s[56:59], 0 offset:100 ; 4-byte Folded Spill
	;; [unrolled: 10-line block ×4, first 2 shown]
	v_fma_f64 v[4:5], v[163:164], s[22:23], -v[0:1]
	v_mul_f64 v[0:1], v[56:57], s[26:27]
	buffer_store_dword v0, off, s[56:59], 0 offset:408 ; 4-byte Folded Spill
	buffer_store_dword v1, off, s[56:59], 0 offset:412 ; 4-byte Folded Spill
	v_add_f64 v[141:142], v[4:5], v[2:3]
	v_fma_f64 v[4:5], v[133:134], s[6:7], v[0:1]
	v_mul_f64 v[0:1], v[70:71], s[34:35]
	buffer_store_dword v0, off, s[56:59], 0 offset:160 ; 4-byte Folded Spill
	buffer_store_dword v1, off, s[56:59], 0 offset:164 ; 4-byte Folded Spill
	v_add_f64 v[4:5], v[40:41], v[4:5]
	v_fma_f64 v[6:7], v[108:109], s[10:11], v[0:1]
	v_mul_f64 v[0:1], v[58:59], s[26:27]
	buffer_store_dword v0, off, s[56:59], 0 offset:424 ; 4-byte Folded Spill
	buffer_store_dword v1, off, s[56:59], 0 offset:428 ; 4-byte Folded Spill
	v_add_f64 v[4:5], v[6:7], v[4:5]
	v_fma_f64 v[6:7], v[137:138], s[6:7], -v[0:1]
	v_mul_f64 v[0:1], v[68:69], s[34:35]
	buffer_store_dword v0, off, s[56:59], 0 offset:208 ; 4-byte Folded Spill
	buffer_store_dword v1, off, s[56:59], 0 offset:212 ; 4-byte Folded Spill
	v_add_f64 v[6:7], v[42:43], v[6:7]
	v_fma_f64 v[8:9], v[110:111], s[10:11], -v[0:1]
	v_mul_f64 v[0:1], v[219:220], s[30:31]
	buffer_store_dword v0, off, s[56:59], 0 offset:200 ; 4-byte Folded Spill
	buffer_store_dword v1, off, s[56:59], 0 offset:204 ; 4-byte Folded Spill
	v_add_f64 v[6:7], v[8:9], v[6:7]
	v_fma_f64 v[8:9], v[114:115], s[18:19], v[0:1]
	v_mul_f64 v[0:1], v[221:222], s[30:31]
	buffer_store_dword v0, off, s[56:59], 0 offset:224 ; 4-byte Folded Spill
	buffer_store_dword v1, off, s[56:59], 0 offset:228 ; 4-byte Folded Spill
	v_add_f64 v[4:5], v[8:9], v[4:5]
	v_fma_f64 v[8:9], v[118:119], s[18:19], -v[0:1]
	v_mul_f64 v[0:1], v[223:224], s[40:41]
	buffer_store_dword v0, off, s[56:59], 0 offset:216 ; 4-byte Folded Spill
	buffer_store_dword v1, off, s[56:59], 0 offset:220 ; 4-byte Folded Spill
	v_add_f64 v[6:7], v[8:9], v[6:7]
	v_fma_f64 v[8:9], v[126:127], s[22:23], v[0:1]
	v_mul_f64 v[0:1], v[225:226], s[40:41]
	buffer_store_dword v0, off, s[56:59], 0 offset:248 ; 4-byte Folded Spill
	buffer_store_dword v1, off, s[56:59], 0 offset:252 ; 4-byte Folded Spill
	v_add_f64 v[4:5], v[8:9], v[4:5]
	v_fma_f64 v[8:9], v[129:130], s[22:23], -v[0:1]
	v_mul_f64 v[0:1], v[227:228], s[50:51]
	buffer_store_dword v0, off, s[56:59], 0 offset:240 ; 4-byte Folded Spill
	buffer_store_dword v1, off, s[56:59], 0 offset:244 ; 4-byte Folded Spill
	v_add_f64 v[6:7], v[8:9], v[6:7]
	v_fma_f64 v[8:9], v[143:144], s[20:21], v[0:1]
	v_mul_f64 v[0:1], v[229:230], s[50:51]
	buffer_store_dword v0, off, s[56:59], 0 offset:256 ; 4-byte Folded Spill
	buffer_store_dword v1, off, s[56:59], 0 offset:260 ; 4-byte Folded Spill
	v_add_f64 v[4:5], v[8:9], v[4:5]
	v_fma_f64 v[8:9], v[147:148], s[20:21], -v[0:1]
	v_mul_f64 v[0:1], v[231:232], s[48:49]
	buffer_store_dword v0, off, s[56:59], 0 offset:176 ; 4-byte Folded Spill
	buffer_store_dword v1, off, s[56:59], 0 offset:180 ; 4-byte Folded Spill
	v_add_f64 v[6:7], v[8:9], v[6:7]
	v_fma_f64 v[8:9], v[151:152], s[16:17], v[0:1]
	v_mul_f64 v[0:1], v[233:234], s[48:49]
	buffer_store_dword v0, off, s[56:59], 0 offset:184 ; 4-byte Folded Spill
	buffer_store_dword v1, off, s[56:59], 0 offset:188 ; 4-byte Folded Spill
	v_add_f64 v[4:5], v[8:9], v[4:5]
	v_fma_f64 v[8:9], v[155:156], s[16:17], -v[0:1]
	v_mul_f64 v[0:1], v[235:236], s[42:43]
	buffer_store_dword v0, off, s[56:59], 0 offset:152 ; 4-byte Folded Spill
	buffer_store_dword v1, off, s[56:59], 0 offset:156 ; 4-byte Folded Spill
	v_add_f64 v[6:7], v[8:9], v[6:7]
	v_fma_f64 v[8:9], v[167:168], s[8:9], v[0:1]
	v_mul_f64 v[0:1], v[237:238], s[42:43]
	buffer_store_dword v0, off, s[56:59], 0 offset:168 ; 4-byte Folded Spill
	buffer_store_dword v1, off, s[56:59], 0 offset:172 ; 4-byte Folded Spill
	v_add_f64 v[4:5], v[8:9], v[4:5]
	v_fma_f64 v[8:9], v[171:172], s[8:9], -v[0:1]
	v_mul_f64 v[0:1], v[239:240], s[44:45]
	buffer_store_dword v0, off, s[56:59], 0 offset:136 ; 4-byte Folded Spill
	buffer_store_dword v1, off, s[56:59], 0 offset:140 ; 4-byte Folded Spill
	v_add_f64 v[6:7], v[8:9], v[6:7]
	v_fma_f64 v[8:9], v[159:160], s[4:5], v[0:1]
	v_mul_f64 v[0:1], v[241:242], s[44:45]
	buffer_store_dword v0, off, s[56:59], 0 offset:144 ; 4-byte Folded Spill
	buffer_store_dword v1, off, s[56:59], 0 offset:148 ; 4-byte Folded Spill
	v_add_f64 v[4:5], v[8:9], v[4:5]
	v_fma_f64 v[8:9], v[163:164], s[4:5], -v[0:1]
	v_mul_f64 v[0:1], v[56:57], s[36:37]
	buffer_store_dword v0, off, s[56:59], 0 offset:488 ; 4-byte Folded Spill
	buffer_store_dword v1, off, s[56:59], 0 offset:492 ; 4-byte Folded Spill
	v_add_f64 v[6:7], v[8:9], v[6:7]
	v_fma_f64 v[8:9], v[133:134], s[8:9], v[0:1]
	v_mul_f64 v[0:1], v[70:71], s[30:31]
	buffer_store_dword v0, off, s[56:59], 0 offset:296 ; 4-byte Folded Spill
	buffer_store_dword v1, off, s[56:59], 0 offset:300 ; 4-byte Folded Spill
	v_add_f64 v[8:9], v[40:41], v[8:9]
	v_fma_f64 v[10:11], v[108:109], s[18:19], v[0:1]
	v_mul_f64 v[0:1], v[58:59], s[36:37]
	buffer_store_dword v0, off, s[56:59], 0 offset:496 ; 4-byte Folded Spill
	buffer_store_dword v1, off, s[56:59], 0 offset:500 ; 4-byte Folded Spill
	v_add_f64 v[8:9], v[10:11], v[8:9]
	v_fma_f64 v[10:11], v[137:138], s[8:9], -v[0:1]
	v_mul_f64 v[0:1], v[68:69], s[30:31]
	buffer_store_dword v0, off, s[56:59], 0 offset:312 ; 4-byte Folded Spill
	buffer_store_dword v1, off, s[56:59], 0 offset:316 ; 4-byte Folded Spill
	v_add_f64 v[10:11], v[42:43], v[10:11]
	v_fma_f64 v[12:13], v[110:111], s[18:19], -v[0:1]
	v_mul_f64 v[0:1], v[219:220], s[46:47]
	buffer_store_dword v0, off, s[56:59], 0 offset:304 ; 4-byte Folded Spill
	buffer_store_dword v1, off, s[56:59], 0 offset:308 ; 4-byte Folded Spill
	v_add_f64 v[10:11], v[12:13], v[10:11]
	v_fma_f64 v[12:13], v[114:115], s[22:23], v[0:1]
	v_mul_f64 v[0:1], v[221:222], s[46:47]
	buffer_store_dword v0, off, s[56:59], 0 offset:336 ; 4-byte Folded Spill
	buffer_store_dword v1, off, s[56:59], 0 offset:340 ; 4-byte Folded Spill
	v_add_f64 v[8:9], v[12:13], v[8:9]
	s_mov_b32 s47, 0x3fe58eea
	s_mov_b32 s46, s26
	v_mul_f64 v[149:150], v[221:222], s[46:47]
	v_mul_f64 v[124:125], v[235:236], s[46:47]
	;; [unrolled: 1-line block ×3, first 2 shown]
	v_fma_f64 v[12:13], v[118:119], s[22:23], -v[0:1]
	v_mul_f64 v[0:1], v[223:224], s[48:49]
	buffer_store_dword v0, off, s[56:59], 0 offset:328 ; 4-byte Folded Spill
	buffer_store_dword v1, off, s[56:59], 0 offset:332 ; 4-byte Folded Spill
	v_add_f64 v[10:11], v[12:13], v[10:11]
	v_fma_f64 v[12:13], v[126:127], s[16:17], v[0:1]
	v_mul_f64 v[0:1], v[225:226], s[48:49]
	buffer_store_dword v0, off, s[56:59], 0 offset:352 ; 4-byte Folded Spill
	buffer_store_dword v1, off, s[56:59], 0 offset:356 ; 4-byte Folded Spill
	v_add_f64 v[8:9], v[12:13], v[8:9]
	v_fma_f64 v[12:13], v[129:130], s[16:17], -v[0:1]
	v_mul_f64 v[0:1], v[227:228], s[46:47]
	buffer_store_dword v0, off, s[56:59], 0 offset:344 ; 4-byte Folded Spill
	buffer_store_dword v1, off, s[56:59], 0 offset:348 ; 4-byte Folded Spill
	v_add_f64 v[10:11], v[12:13], v[10:11]
	v_fma_f64 v[12:13], v[143:144], s[6:7], v[0:1]
	v_mul_f64 v[0:1], v[229:230], s[46:47]
	buffer_store_dword v0, off, s[56:59], 0 offset:384 ; 4-byte Folded Spill
	buffer_store_dword v1, off, s[56:59], 0 offset:388 ; 4-byte Folded Spill
	v_add_f64 v[8:9], v[12:13], v[8:9]
	;; [unrolled: 10-line block ×5, first 2 shown]
	v_fma_f64 v[12:13], v[163:164], s[20:21], -v[0:1]
	v_mul_f64 v[0:1], v[70:71], s[40:41]
	buffer_store_dword v0, off, s[56:59], 0 offset:416 ; 4-byte Folded Spill
	buffer_store_dword v1, off, s[56:59], 0 offset:420 ; 4-byte Folded Spill
	v_add_f64 v[10:11], v[12:13], v[10:11]
	v_fma_f64 v[12:13], v[133:134], s[10:11], v[169:170]
	v_add_f64 v[12:13], v[40:41], v[12:13]
	v_fma_f64 v[14:15], v[108:109], s[22:23], v[0:1]
	v_mul_f64 v[0:1], v[68:69], s[40:41]
	buffer_store_dword v0, off, s[56:59], 0 offset:440 ; 4-byte Folded Spill
	buffer_store_dword v1, off, s[56:59], 0 offset:444 ; 4-byte Folded Spill
	v_add_f64 v[12:13], v[14:15], v[12:13]
	v_fma_f64 v[14:15], v[137:138], s[10:11], -v[177:178]
	v_add_f64 v[14:15], v[42:43], v[14:15]
	v_fma_f64 v[16:17], v[110:111], s[22:23], -v[0:1]
	v_mul_f64 v[0:1], v[219:220], s[48:49]
	buffer_store_dword v0, off, s[56:59], 0 offset:432 ; 4-byte Folded Spill
	buffer_store_dword v1, off, s[56:59], 0 offset:436 ; 4-byte Folded Spill
	v_add_f64 v[14:15], v[16:17], v[14:15]
	v_fma_f64 v[16:17], v[114:115], s[16:17], v[0:1]
	v_mul_f64 v[0:1], v[221:222], s[48:49]
	buffer_store_dword v0, off, s[56:59], 0 offset:456 ; 4-byte Folded Spill
	buffer_store_dword v1, off, s[56:59], 0 offset:460 ; 4-byte Folded Spill
	v_add_f64 v[12:13], v[16:17], v[12:13]
	v_fma_f64 v[16:17], v[118:119], s[16:17], -v[0:1]
	v_mul_f64 v[0:1], v[223:224], s[44:45]
	buffer_store_dword v0, off, s[56:59], 0 offset:448 ; 4-byte Folded Spill
	buffer_store_dword v1, off, s[56:59], 0 offset:452 ; 4-byte Folded Spill
	v_add_f64 v[14:15], v[16:17], v[14:15]
	v_fma_f64 v[16:17], v[126:127], s[4:5], v[0:1]
	v_mul_f64 v[0:1], v[225:226], s[44:45]
	buffer_store_dword v0, off, s[56:59], 0 offset:472 ; 4-byte Folded Spill
	buffer_store_dword v1, off, s[56:59], 0 offset:476 ; 4-byte Folded Spill
	;; [unrolled: 10-line block ×6, first 2 shown]
	v_add_f64 v[12:13], v[16:17], v[12:13]
	v_fma_f64 v[16:17], v[163:164], s[6:7], -v[0:1]
	v_mul_f64 v[0:1], v[70:71], s[50:51]
	buffer_store_dword v0, off, s[56:59], 0 offset:504 ; 4-byte Folded Spill
	buffer_store_dword v1, off, s[56:59], 0 offset:508 ; 4-byte Folded Spill
	v_add_f64 v[14:15], v[16:17], v[14:15]
	v_fma_f64 v[16:17], v[133:134], s[16:17], v[191:192]
	v_add_f64 v[16:17], v[40:41], v[16:17]
	v_fma_f64 v[18:19], v[108:109], s[20:21], v[0:1]
	v_mul_f64 v[0:1], v[68:69], s[50:51]
	buffer_store_dword v0, off, s[56:59], 0 offset:528 ; 4-byte Folded Spill
	buffer_store_dword v1, off, s[56:59], 0 offset:532 ; 4-byte Folded Spill
	v_add_f64 v[16:17], v[18:19], v[16:17]
	v_fma_f64 v[18:19], v[137:138], s[16:17], -v[197:198]
	v_mul_f64 v[68:69], v[68:69], s[44:45]
	v_add_f64 v[18:19], v[42:43], v[18:19]
	v_fma_f64 v[20:21], v[110:111], s[20:21], -v[0:1]
	v_mul_f64 v[0:1], v[219:220], s[46:47]
	buffer_store_dword v0, off, s[56:59], 0 offset:512 ; 4-byte Folded Spill
	buffer_store_dword v1, off, s[56:59], 0 offset:516 ; 4-byte Folded Spill
	v_add_f64 v[18:19], v[20:21], v[18:19]
	v_fma_f64 v[20:21], v[114:115], s[6:7], v[0:1]
	v_mul_f64 v[0:1], v[223:224], s[36:37]
	buffer_store_dword v0, off, s[56:59], 0 offset:520 ; 4-byte Folded Spill
	buffer_store_dword v1, off, s[56:59], 0 offset:524 ; 4-byte Folded Spill
	v_add_f64 v[16:17], v[20:21], v[16:17]
	v_fma_f64 v[20:21], v[118:119], s[6:7], -v[149:150]
	s_mov_b32 s37, 0x3fefdd0d
	s_mov_b32 s36, s34
	s_waitcnt_vscnt null, 0x0
	v_mul_f64 v[157:158], v[231:232], s[36:37]
	v_mul_f64 v[175:176], v[233:234], s[36:37]
	;; [unrolled: 1-line block ×4, first 2 shown]
	s_barrier
	buffer_gl0_inv
	v_add_f64 v[18:19], v[20:21], v[18:19]
	v_fma_f64 v[20:21], v[126:127], s[8:9], v[0:1]
	v_mul_f64 v[0:1], v[233:234], s[40:41]
	v_add_f64 v[16:17], v[20:21], v[16:17]
	v_fma_f64 v[20:21], v[129:130], s[8:9], -v[153:154]
	v_fma_f64 v[2:3], v[155:156], s[22:23], v[0:1]
	v_fma_f64 v[0:1], v[155:156], s[22:23], -v[0:1]
	v_add_f64 v[18:19], v[20:21], v[18:19]
	v_fma_f64 v[20:21], v[143:144], s[22:23], v[145:146]
	v_add_f64 v[16:17], v[20:21], v[16:17]
	v_fma_f64 v[20:21], v[147:148], s[22:23], -v[161:162]
	v_add_f64 v[18:19], v[20:21], v[18:19]
	v_fma_f64 v[20:21], v[151:152], s[10:11], v[157:158]
	v_add_f64 v[16:17], v[20:21], v[16:17]
	;; [unrolled: 4-line block ×5, first 2 shown]
	v_add_f64 v[20:21], v[22:23], v[20:21]
	v_fma_f64 v[22:23], v[137:138], s[18:19], -v[217:218]
	v_add_f64 v[22:23], v[42:43], v[22:23]
	v_add_f64 v[22:23], v[24:25], v[22:23]
	v_fma_f64 v[24:25], v[114:115], s[4:5], v[185:186]
	v_add_f64 v[20:21], v[24:25], v[20:21]
	v_fma_f64 v[24:25], v[118:119], s[4:5], -v[195:196]
	v_add_f64 v[22:23], v[24:25], v[22:23]
	v_fma_f64 v[24:25], v[126:127], s[20:21], v[187:188]
	v_add_f64 v[20:21], v[24:25], v[20:21]
	v_fma_f64 v[24:25], v[129:130], s[20:21], -v[201:202]
	;; [unrolled: 4-line block ×6, first 2 shown]
	v_add_f64 v[22:23], v[24:25], v[22:23]
	v_mul_f64 v[24:25], v[56:57], s[38:39]
	v_fma_f64 v[26:27], v[133:134], s[20:21], -v[24:25]
	v_add_f64 v[26:27], v[40:41], v[26:27]
	v_add_f64 v[26:27], v[28:29], v[26:27]
	v_fma_f64 v[28:29], v[137:138], s[20:21], v[245:246]
	v_add_f64 v[28:29], v[42:43], v[28:29]
	v_add_f64 v[28:29], v[30:31], v[28:29]
	v_fma_f64 v[30:31], v[114:115], s[10:11], -v[249:250]
	v_add_f64 v[26:27], v[30:31], v[26:27]
	v_fma_f64 v[30:31], v[118:119], s[10:11], v[251:252]
	v_add_f64 v[28:29], v[30:31], v[28:29]
	v_fma_f64 v[30:31], v[126:127], s[18:19], -v[253:254]
	v_add_f64 v[26:27], v[30:31], v[26:27]
	v_fma_f64 v[30:31], v[129:130], s[18:19], v[112:113]
	v_fma_f64 v[112:113], v[129:130], s[18:19], -v[112:113]
	v_add_f64 v[28:29], v[30:31], v[28:29]
	v_fma_f64 v[30:31], v[143:144], s[4:5], -v[116:117]
	v_add_f64 v[26:27], v[30:31], v[26:27]
	v_fma_f64 v[30:31], v[147:148], s[4:5], v[120:121]
	v_add_f64 v[28:29], v[30:31], v[28:29]
	v_fma_f64 v[30:31], v[151:152], s[22:23], -v[122:123]
	v_add_f64 v[2:3], v[2:3], v[28:29]
	v_add_f64 v[26:27], v[30:31], v[26:27]
	v_fma_f64 v[28:29], v[167:168], s[6:7], -v[124:125]
	v_add_f64 v[26:27], v[28:29], v[26:27]
	v_fma_f64 v[28:29], v[171:172], s[6:7], v[131:132]
	v_add_f64 v[2:3], v[28:29], v[2:3]
	v_fma_f64 v[28:29], v[159:160], s[16:17], -v[135:136]
	v_add_f64 v[28:29], v[28:29], v[26:27]
	v_mul_f64 v[26:27], v[241:242], s[28:29]
	v_fma_f64 v[30:31], v[163:164], s[16:17], v[26:27]
	v_fma_f64 v[26:27], v[163:164], s[16:17], -v[26:27]
	v_add_f64 v[30:31], v[30:31], v[2:3]
	v_fma_f64 v[2:3], v[133:134], s[20:21], v[24:25]
	v_fma_f64 v[24:25], v[108:109], s[8:9], v[243:244]
	v_fma_f64 v[243:244], v[110:111], s[8:9], -v[247:248]
	v_add_f64 v[2:3], v[40:41], v[2:3]
	v_add_f64 v[2:3], v[24:25], v[2:3]
	v_fma_f64 v[24:25], v[137:138], s[20:21], -v[245:246]
	v_add_f64 v[24:25], v[42:43], v[24:25]
	v_add_f64 v[24:25], v[243:244], v[24:25]
	v_fma_f64 v[243:244], v[114:115], s[10:11], v[249:250]
	v_add_f64 v[2:3], v[243:244], v[2:3]
	v_fma_f64 v[243:244], v[118:119], s[10:11], -v[251:252]
	v_add_f64 v[24:25], v[243:244], v[24:25]
	v_fma_f64 v[243:244], v[126:127], s[18:19], v[253:254]
	v_add_f64 v[24:25], v[112:113], v[24:25]
	v_add_f64 v[2:3], v[243:244], v[2:3]
	v_fma_f64 v[112:113], v[143:144], s[4:5], v[116:117]
	v_add_f64 v[2:3], v[112:113], v[2:3]
	v_fma_f64 v[112:113], v[147:148], s[4:5], -v[120:121]
	v_add_f64 v[24:25], v[112:113], v[24:25]
	v_fma_f64 v[112:113], v[151:152], s[22:23], v[122:123]
	v_add_f64 v[0:1], v[0:1], v[24:25]
	v_add_f64 v[2:3], v[112:113], v[2:3]
	v_fma_f64 v[24:25], v[167:168], s[6:7], v[124:125]
	v_fma_f64 v[112:113], v[110:111], s[4:5], v[68:69]
	v_fma_f64 v[68:69], v[110:111], s[4:5], -v[68:69]
	v_add_f64 v[2:3], v[24:25], v[2:3]
	v_fma_f64 v[24:25], v[171:172], s[6:7], -v[131:132]
	v_add_f64 v[0:1], v[24:25], v[0:1]
	v_fma_f64 v[24:25], v[159:160], s[16:17], v[135:136]
	v_add_f64 v[26:27], v[26:27], v[0:1]
	v_mul_f64 v[0:1], v[56:57], s[40:41]
	v_add_f64 v[24:25], v[24:25], v[2:3]
	v_mul_f64 v[2:3], v[70:71], s[44:45]
	v_fma_f64 v[56:57], v[133:134], s[22:23], -v[0:1]
	v_fma_f64 v[0:1], v[133:134], s[22:23], v[0:1]
	v_fma_f64 v[70:71], v[108:109], s[4:5], -v[2:3]
	v_fma_f64 v[2:3], v[108:109], s[4:5], v[2:3]
	v_add_f64 v[56:57], v[40:41], v[56:57]
	v_add_f64 v[0:1], v[40:41], v[0:1]
	;; [unrolled: 1-line block ×3, first 2 shown]
	v_mul_f64 v[70:71], v[58:59], s[40:41]
	v_add_f64 v[0:1], v[2:3], v[0:1]
	v_fma_f64 v[58:59], v[137:138], s[22:23], v[70:71]
	v_fma_f64 v[2:3], v[137:138], s[22:23], -v[70:71]
	v_add_f64 v[58:59], v[42:43], v[58:59]
	v_add_f64 v[2:3], v[42:43], v[2:3]
	;; [unrolled: 1-line block ×3, first 2 shown]
	v_mul_f64 v[112:113], v[219:220], s[38:39]
	v_add_f64 v[2:3], v[68:69], v[2:3]
	v_fma_f64 v[116:117], v[114:115], s[20:21], -v[112:113]
	v_fma_f64 v[68:69], v[114:115], s[20:21], v[112:113]
	v_add_f64 v[56:57], v[116:117], v[56:57]
	v_mul_f64 v[116:117], v[221:222], s[38:39]
	v_add_f64 v[0:1], v[68:69], v[0:1]
	v_fma_f64 v[120:121], v[118:119], s[20:21], v[116:117]
	v_fma_f64 v[68:69], v[118:119], s[20:21], -v[116:117]
	v_add_f64 v[58:59], v[120:121], v[58:59]
	v_mul_f64 v[120:121], v[223:224], s[46:47]
	v_add_f64 v[2:3], v[68:69], v[2:3]
	v_fma_f64 v[122:123], v[126:127], s[6:7], -v[120:121]
	v_fma_f64 v[68:69], v[126:127], s[6:7], v[120:121]
	v_add_f64 v[56:57], v[122:123], v[56:57]
	v_mul_f64 v[122:123], v[225:226], s[46:47]
	v_add_f64 v[0:1], v[68:69], v[0:1]
	v_fma_f64 v[124:125], v[129:130], s[6:7], v[122:123]
	v_fma_f64 v[68:69], v[129:130], s[6:7], -v[122:123]
	v_add_f64 v[58:59], v[124:125], v[58:59]
	v_mul_f64 v[124:125], v[227:228], s[30:31]
	v_add_f64 v[2:3], v[68:69], v[2:3]
	v_mul_f64 v[227:228], v[241:242], s[36:37]
	v_fma_f64 v[131:132], v[143:144], s[18:19], -v[124:125]
	v_fma_f64 v[68:69], v[143:144], s[18:19], v[124:125]
	v_fma_f64 v[70:71], v[163:164], s[10:11], -v[227:228]
	v_add_f64 v[56:57], v[131:132], v[56:57]
	v_mul_f64 v[131:132], v[229:230], s[30:31]
	v_add_f64 v[0:1], v[68:69], v[0:1]
	v_fma_f64 v[135:136], v[147:148], s[18:19], v[131:132]
	v_fma_f64 v[68:69], v[147:148], s[18:19], -v[131:132]
	v_add_f64 v[58:59], v[135:136], v[58:59]
	v_mul_f64 v[135:136], v[231:232], s[42:43]
	v_add_f64 v[2:3], v[68:69], v[2:3]
	v_fma_f64 v[219:220], v[151:152], s[8:9], -v[135:136]
	v_fma_f64 v[68:69], v[151:152], s[8:9], v[135:136]
	v_add_f64 v[56:57], v[219:220], v[56:57]
	v_mul_f64 v[219:220], v[233:234], s[42:43]
	v_add_f64 v[0:1], v[68:69], v[0:1]
	v_fma_f64 v[221:222], v[155:156], s[8:9], v[219:220]
	v_fma_f64 v[68:69], v[155:156], s[8:9], -v[219:220]
	v_mul_lo_u16 v219, v128, 17
	v_add_f64 v[58:59], v[221:222], v[58:59]
	v_mul_f64 v[221:222], v[235:236], s[28:29]
	v_add_f64 v[2:3], v[68:69], v[2:3]
	v_fma_f64 v[223:224], v[167:168], s[16:17], -v[221:222]
	v_fma_f64 v[68:69], v[167:168], s[16:17], v[221:222]
	v_add_f64 v[56:57], v[223:224], v[56:57]
	v_mul_f64 v[223:224], v[237:238], s[28:29]
	v_add_f64 v[0:1], v[68:69], v[0:1]
	v_mov_b32_e32 v238, v142
	v_mov_b32_e32 v237, v141
	v_mov_b32_e32 v236, v140
	v_mov_b32_e32 v235, v139
	v_fma_f64 v[225:226], v[171:172], s[16:17], v[223:224]
	v_fma_f64 v[68:69], v[171:172], s[16:17], -v[223:224]
	v_add_f64 v[58:59], v[225:226], v[58:59]
	v_mul_f64 v[225:226], v[239:240], s[36:37]
	v_add_f64 v[2:3], v[68:69], v[2:3]
	v_fma_f64 v[229:230], v[159:160], s[10:11], -v[225:226]
	v_fma_f64 v[68:69], v[159:160], s[10:11], v[225:226]
	v_add_f64 v[70:71], v[70:71], v[2:3]
	v_add_f64 v[56:57], v[229:230], v[56:57]
	v_fma_f64 v[229:230], v[163:164], s[10:11], v[227:228]
	v_add_f64 v[68:69], v[68:69], v[0:1]
	v_add_f64 v[58:59], v[229:230], v[58:59]
	s_and_saveexec_b32 s24, vcc_lo
	s_cbranch_execz .LBB0_7
; %bb.6:
	v_add_f64 v[0:1], v[42:43], v[62:63]
	v_add_f64 v[2:3], v[40:41], v[60:61]
	v_mul_f64 v[60:61], v[137:138], s[10:11]
	v_mul_f64 v[62:63], v[133:134], s[10:11]
	;; [unrolled: 1-line block ×8, first 2 shown]
	v_add_f64 v[0:1], v[0:1], v[66:67]
	v_add_f64 v[2:3], v[2:3], v[64:65]
	s_clause 0x1
	buffer_load_dword v66, off, s[56:59], 0 offset:496
	buffer_load_dword v67, off, s[56:59], 0 offset:500
	v_mul_f64 v[64:65], v[137:138], s[8:9]
	v_add_f64 v[116:117], v[149:150], v[116:117]
	v_add_f64 v[112:113], v[153:154], v[112:113]
	v_add_f64 v[131:132], v[131:132], -v[157:158]
	v_add_f64 v[124:125], v[124:125], -v[165:166]
	;; [unrolled: 1-line block ×3, first 2 shown]
	v_add_f64 v[60:61], v[177:178], v[60:61]
	v_add_f64 v[0:1], v[0:1], v[74:75]
	;; [unrolled: 1-line block ×3, first 2 shown]
	s_clause 0x3
	buffer_load_dword v72, off, s[56:59], 0 offset:488
	buffer_load_dword v73, off, s[56:59], 0 offset:492
	;; [unrolled: 1-line block ×4, first 2 shown]
	v_add_f64 v[62:63], v[40:41], v[62:63]
	v_add_f64 v[60:61], v[42:43], v[60:61]
	;; [unrolled: 1-line block ×4, first 2 shown]
	s_clause 0x3
	buffer_load_dword v76, off, s[56:59], 0 offset:408
	buffer_load_dword v77, off, s[56:59], 0 offset:412
	;; [unrolled: 1-line block ×4, first 2 shown]
	v_add_f64 v[0:1], v[0:1], v[82:83]
	v_add_f64 v[2:3], v[2:3], v[80:81]
	s_clause 0x3
	buffer_load_dword v80, off, s[56:59], 0 offset:56
	buffer_load_dword v81, off, s[56:59], 0 offset:60
	buffer_load_dword v122, off, s[56:59], 0 offset:528
	buffer_load_dword v123, off, s[56:59], 0 offset:532
	v_mul_f64 v[82:83], v[118:119], s[4:5]
	v_add_f64 v[0:1], v[0:1], v[86:87]
	v_add_f64 v[2:3], v[2:3], v[84:85]
	v_mul_f64 v[84:85], v[110:111], s[16:17]
	v_mul_f64 v[86:87], v[159:160], s[8:9]
	v_add_f64 v[82:83], v[195:196], v[82:83]
	v_add_f64 v[0:1], v[0:1], v[90:91]
	;; [unrolled: 1-line block ×4, first 2 shown]
	v_mul_f64 v[90:91], v[151:152], s[6:7]
	v_mul_f64 v[88:89], v[167:168], s[22:23]
	v_add_f64 v[86:87], v[86:87], -v[207:208]
	v_add_f64 v[0:1], v[0:1], v[98:99]
	v_add_f64 v[2:3], v[2:3], v[96:97]
	v_mul_f64 v[98:99], v[108:109], s[16:17]
	v_mul_f64 v[96:97], v[114:115], s[4:5]
	v_add_f64 v[90:91], v[90:91], -v[199:200]
	v_add_f64 v[88:89], v[88:89], -v[203:204]
	v_add_f64 v[0:1], v[0:1], v[102:103]
	v_add_f64 v[2:3], v[2:3], v[100:101]
	v_mul_f64 v[102:103], v[171:172], s[4:5]
	v_mul_f64 v[100:101], v[163:164], s[18:19]
	v_add_f64 v[98:99], v[98:99], -v[183:184]
	v_add_f64 v[96:97], v[96:97], -v[185:186]
	v_add_f64 v[0:1], v[0:1], v[106:107]
	v_add_f64 v[2:3], v[2:3], v[104:105]
	v_mul_f64 v[106:107], v[147:148], s[22:23]
	v_mul_f64 v[104:105], v[155:156], s[10:11]
	v_add_f64 v[102:103], v[179:180], v[102:103]
	v_add_f64 v[100:101], v[181:182], v[100:101]
	;; [unrolled: 1-line block ×6, first 2 shown]
	v_mul_f64 v[94:95], v[126:127], s[20:21]
	v_mul_f64 v[92:93], v[143:144], s[10:11]
	v_add_f64 v[0:1], v[0:1], v[54:55]
	v_add_f64 v[2:3], v[2:3], v[52:53]
	v_mul_f64 v[52:53], v[137:138], s[16:17]
	v_mul_f64 v[54:55], v[133:134], s[16:17]
	v_add_f64 v[94:95], v[94:95], -v[187:188]
	v_add_f64 v[92:93], v[92:93], -v[193:194]
	v_add_f64 v[0:1], v[0:1], v[50:51]
	v_add_f64 v[2:3], v[2:3], v[48:49]
	v_mul_f64 v[48:49], v[137:138], s[18:19]
	v_mul_f64 v[50:51], v[133:134], s[18:19]
	v_add_f64 v[54:55], v[54:55], -v[191:192]
	v_add_f64 v[52:53], v[197:198], v[52:53]
	v_add_f64 v[0:1], v[0:1], v[46:47]
	v_mul_f64 v[46:47], v[171:172], s[22:23]
	v_add_f64 v[48:49], v[217:218], v[48:49]
	v_add_f64 v[50:51], v[50:51], -v[215:216]
	v_add_f64 v[54:55], v[40:41], v[54:55]
	v_add_f64 v[52:53], v[42:43], v[52:53]
	;; [unrolled: 1-line block ×3, first 2 shown]
	v_mul_f64 v[44:45], v[163:164], s[8:9]
	v_add_f64 v[0:1], v[0:1], v[38:39]
	v_add_f64 v[46:47], v[211:212], v[46:47]
	;; [unrolled: 1-line block ×9, first 2 shown]
	v_mul_f64 v[84:85], v[159:160], s[6:7]
	v_add_f64 v[32:33], v[2:3], v[32:33]
	s_waitcnt vmcnt(12)
	v_add_f64 v[64:65], v[66:67], v[64:65]
	v_mul_f64 v[66:67], v[133:134], s[8:9]
	v_add_f64 v[48:49], v[82:83], v[48:49]
	v_add_f64 v[50:51], v[96:97], v[50:51]
	v_mul_f64 v[82:83], v[163:164], s[20:21]
	v_add_f64 v[64:65], v[42:43], v[64:65]
	s_waitcnt vmcnt(10)
	v_add_f64 v[66:67], v[66:67], -v[72:73]
	v_mul_f64 v[72:73], v[137:138], s[6:7]
	v_add_f64 v[50:51], v[94:95], v[50:51]
	v_add_f64 v[66:67], v[40:41], v[66:67]
	s_waitcnt vmcnt(8)
	v_add_f64 v[72:73], v[74:75], v[72:73]
	v_mul_f64 v[74:75], v[133:134], s[6:7]
	v_add_f64 v[50:51], v[92:93], v[50:51]
	s_waitcnt vmcnt(0)
	v_add_f64 v[120:121], v[122:123], v[120:121]
	v_mul_f64 v[122:123], v[159:160], s[18:19]
	v_add_f64 v[74:75], v[74:75], -v[76:77]
	v_mul_f64 v[76:77], v[137:138], s[4:5]
	s_clause 0x5
	buffer_load_dword v137, off, s[56:59], 0 offset:520
	buffer_load_dword v138, off, s[56:59], 0 offset:524
	;; [unrolled: 1-line block ×6, first 2 shown]
	v_add_f64 v[72:73], v[42:43], v[72:73]
	v_add_f64 v[50:51], v[90:91], v[50:51]
	;; [unrolled: 1-line block ×3, first 2 shown]
	v_add_f64 v[122:123], v[122:123], -v[173:174]
	v_add_f64 v[74:75], v[40:41], v[74:75]
	v_add_f64 v[76:77], v[78:79], v[76:77]
	v_mul_f64 v[78:79], v[133:134], s[4:5]
	v_mul_f64 v[133:134], v[143:144], s[22:23]
	v_add_f64 v[52:53], v[116:117], v[52:53]
	v_add_f64 v[42:43], v[42:43], v[76:77]
	v_add_f64 v[78:79], v[78:79], -v[80:81]
	v_add_f64 v[133:134], v[133:134], -v[145:146]
	s_clause 0x27
	buffer_load_dword v145, off, s[56:59], 0 offset:480
	buffer_load_dword v146, off, s[56:59], 0 offset:484
	;; [unrolled: 1-line block ×40, first 2 shown]
	v_mul_f64 v[80:81], v[129:130], s[20:21]
	s_clause 0x1
	buffer_load_dword v199, off, s[56:59], 0 offset:240
	buffer_load_dword v200, off, s[56:59], 0 offset:244
	v_add_f64 v[40:41], v[40:41], v[78:79]
	v_mul_f64 v[78:79], v[147:148], s[10:11]
	v_mul_f64 v[76:77], v[155:156], s[6:7]
	v_add_f64 v[52:53], v[112:113], v[52:53]
	v_add_f64 v[80:81], v[201:202], v[80:81]
	s_clause 0x3
	buffer_load_dword v201, off, s[56:59], 0 offset:216
	buffer_load_dword v202, off, s[56:59], 0 offset:220
	;; [unrolled: 1-line block ×4, first 2 shown]
	v_add_f64 v[78:79], v[205:206], v[78:79]
	s_clause 0x1
	buffer_load_dword v205, off, s[56:59], 0 offset:160
	buffer_load_dword v206, off, s[56:59], 0 offset:164
	v_add_f64 v[76:77], v[209:210], v[76:77]
	v_add_f64 v[52:53], v[106:107], v[52:53]
	;; [unrolled: 1-line block ×3, first 2 shown]
	v_mul_f64 v[80:81], v[159:160], s[20:21]
	v_add_f64 v[52:53], v[104:105], v[52:53]
	v_add_f64 v[48:49], v[78:79], v[48:49]
	v_mul_f64 v[78:79], v[163:164], s[4:5]
	v_add_f64 v[48:49], v[76:77], v[48:49]
	v_mul_f64 v[76:77], v[159:160], s[4:5]
	v_add_f64 v[46:47], v[46:47], v[48:49]
	v_add_f64 v[48:49], v[88:89], v[50:51]
	;; [unrolled: 1-line block ×5, first 2 shown]
	s_waitcnt vmcnt(52)
	v_add_f64 v[135:136], v[135:136], -v[137:138]
	v_mul_f64 v[137:138], v[114:115], s[6:7]
	s_waitcnt vmcnt(50)
	v_add_f64 v[137:138], v[137:138], -v[139:140]
	v_mul_f64 v[139:140], v[108:109], s[20:21]
	;; [unrolled: 3-line block ×3, first 2 shown]
	v_add_f64 v[54:55], v[139:140], v[54:55]
	s_waitcnt vmcnt(46)
	v_add_f64 v[141:142], v[145:146], v[141:142]
	v_mul_f64 v[145:146], v[129:130], s[4:5]
	v_add_f64 v[54:55], v[137:138], v[54:55]
	s_waitcnt vmcnt(44)
	v_add_f64 v[145:146], v[149:150], v[145:146]
	v_mul_f64 v[149:150], v[118:119], s[16:17]
	;; [unrolled: 4-line block ×4, first 2 shown]
	v_add_f64 v[54:55], v[131:132], v[54:55]
	v_add_f64 v[60:61], v[153:154], v[60:61]
	s_waitcnt vmcnt(38)
	v_add_f64 v[157:158], v[157:158], -v[161:162]
	v_mul_f64 v[161:162], v[126:127], s[4:5]
	v_add_f64 v[60:61], v[149:150], v[60:61]
	s_waitcnt vmcnt(36)
	v_add_f64 v[161:162], v[161:162], -v[165:166]
	v_mul_f64 v[165:166], v[114:115], s[16:17]
	;; [unrolled: 4-line block ×4, first 2 shown]
	v_add_f64 v[62:63], v[169:170], v[62:63]
	s_waitcnt vmcnt(30)
	v_add_f64 v[173:174], v[175:176], v[173:174]
	v_mul_f64 v[175:176], v[129:130], s[16:17]
	v_add_f64 v[62:63], v[165:166], v[62:63]
	s_waitcnt vmcnt(28)
	v_add_f64 v[175:176], v[177:178], v[175:176]
	v_mul_f64 v[177:178], v[118:119], s[22:23]
	;; [unrolled: 4-line block ×4, first 2 shown]
	v_add_f64 v[64:65], v[179:180], v[64:65]
	s_waitcnt vmcnt(22)
	v_add_f64 v[181:182], v[181:182], -v[183:184]
	v_mul_f64 v[183:184], v[126:127], s[16:17]
	v_add_f64 v[64:65], v[177:178], v[64:65]
	s_waitcnt vmcnt(20)
	v_add_f64 v[183:184], v[183:184], -v[185:186]
	v_mul_f64 v[185:186], v[114:115], s[22:23]
	;; [unrolled: 4-line block ×4, first 2 shown]
	v_mul_f64 v[147:148], v[147:148], s[16:17]
	v_add_f64 v[66:67], v[187:188], v[66:67]
	s_waitcnt vmcnt(14)
	v_add_f64 v[189:190], v[191:192], v[189:190]
	v_mul_f64 v[191:192], v[129:130], s[22:23]
	v_mul_f64 v[129:130], v[129:130], s[10:11]
	v_add_f64 v[66:67], v[185:186], v[66:67]
	s_waitcnt vmcnt(12)
	v_add_f64 v[191:192], v[193:194], v[191:192]
	v_mul_f64 v[193:194], v[118:119], s[18:19]
	;; [unrolled: 5-line block ×4, first 2 shown]
	v_mul_f64 v[143:144], v[143:144], s[16:17]
	v_add_f64 v[72:73], v[195:196], v[72:73]
	s_waitcnt vmcnt(6)
	v_add_f64 v[197:198], v[197:198], -v[199:200]
	v_mul_f64 v[199:200], v[126:127], s[22:23]
	v_mul_f64 v[126:127], v[126:127], s[10:11]
	v_add_f64 v[72:73], v[193:194], v[72:73]
	s_waitcnt vmcnt(4)
	v_add_f64 v[199:200], v[199:200], -v[201:202]
	v_mul_f64 v[201:202], v[114:115], s[18:19]
	;; [unrolled: 5-line block ×3, first 2 shown]
	v_mul_f64 v[108:109], v[108:109], s[6:7]
	v_add_f64 v[72:73], v[189:190], v[72:73]
	s_waitcnt vmcnt(0)
	v_add_f64 v[203:204], v[203:204], -v[205:206]
	s_clause 0x1
	buffer_load_dword v205, off, s[56:59], 0 offset:48
	buffer_load_dword v206, off, s[56:59], 0 offset:52
	v_add_f64 v[74:75], v[203:204], v[74:75]
	v_add_f64 v[74:75], v[201:202], v[74:75]
	;; [unrolled: 1-line block ×4, first 2 shown]
	s_waitcnt vmcnt(0)
	v_add_f64 v[129:130], v[205:206], v[129:130]
	s_clause 0x1
	buffer_load_dword v205, off, s[56:59], 0 offset:32
	buffer_load_dword v206, off, s[56:59], 0 offset:36
	s_waitcnt vmcnt(0)
	v_add_f64 v[118:119], v[205:206], v[118:119]
	s_clause 0x1
	buffer_load_dword v205, off, s[56:59], 0 offset:16
	buffer_load_dword v206, off, s[56:59], 0 offset:20
	;; [unrolled: 5-line block ×3, first 2 shown]
	v_add_f64 v[42:43], v[110:111], v[42:43]
	v_add_f64 v[42:43], v[118:119], v[42:43]
	;; [unrolled: 1-line block ×3, first 2 shown]
	s_waitcnt vmcnt(0)
	v_add_f64 v[126:127], v[126:127], -v[205:206]
	s_clause 0x1
	buffer_load_dword v205, off, s[56:59], 0 offset:8
	buffer_load_dword v206, off, s[56:59], 0 offset:12
	s_waitcnt vmcnt(0)
	v_add_f64 v[108:109], v[108:109], -v[205:206]
	s_clause 0x1
	buffer_load_dword v205, off, s[56:59], 0 offset:24
	buffer_load_dword v206, off, s[56:59], 0 offset:28
	v_add_f64 v[40:41], v[108:109], v[40:41]
	s_waitcnt vmcnt(0)
	v_add_f64 v[114:115], v[114:115], -v[205:206]
	s_clause 0x1
	buffer_load_dword v205, off, s[56:59], 0 offset:80
	buffer_load_dword v206, off, s[56:59], 0 offset:84
	v_add_f64 v[40:41], v[114:115], v[40:41]
	v_add_f64 v[40:41], v[126:127], v[40:41]
	s_waitcnt vmcnt(0)
	v_add_f64 v[147:148], v[205:206], v[147:148]
	s_clause 0xd
	buffer_load_dword v205, off, s[56:59], 0 offset:72
	buffer_load_dword v206, off, s[56:59], 0 offset:76
	;; [unrolled: 1-line block ×14, first 2 shown]
	v_add_f64 v[42:43], v[147:148], v[42:43]
	s_waitcnt vmcnt(12)
	v_add_f64 v[143:144], v[143:144], -v[205:206]
	v_mul_f64 v[205:206], v[155:156], s[20:21]
	v_add_f64 v[40:41], v[143:144], v[40:41]
	s_waitcnt vmcnt(10)
	v_add_f64 v[205:206], v[207:208], v[205:206]
	v_mul_f64 v[207:208], v[151:152], s[20:21]
	v_add_f64 v[60:61], v[205:206], v[60:61]
	s_waitcnt vmcnt(8)
	v_add_f64 v[207:208], v[207:208], -v[209:210]
	v_mul_f64 v[209:210], v[155:156], s[4:5]
	v_add_f64 v[62:63], v[207:208], v[62:63]
	s_waitcnt vmcnt(6)
	v_add_f64 v[209:210], v[211:212], v[209:210]
	v_mul_f64 v[211:212], v[151:152], s[4:5]
	v_add_f64 v[64:65], v[209:210], v[64:65]
	s_waitcnt vmcnt(4)
	v_add_f64 v[211:212], v[211:212], -v[213:214]
	v_mul_f64 v[213:214], v[155:156], s[16:17]
	v_mul_f64 v[155:156], v[155:156], s[18:19]
	v_add_f64 v[66:67], v[211:212], v[66:67]
	s_waitcnt vmcnt(2)
	v_add_f64 v[213:214], v[215:216], v[213:214]
	v_mul_f64 v[215:216], v[151:152], s[16:17]
	v_mul_f64 v[151:152], v[151:152], s[18:19]
	v_add_f64 v[72:73], v[213:214], v[72:73]
	s_waitcnt vmcnt(0)
	v_add_f64 v[215:216], v[215:216], -v[217:218]
	s_clause 0x1
	buffer_load_dword v217, off, s[56:59], 0 offset:96
	buffer_load_dword v218, off, s[56:59], 0 offset:100
	v_add_f64 v[74:75], v[215:216], v[74:75]
	s_waitcnt vmcnt(0)
	v_add_f64 v[155:156], v[217:218], v[155:156]
	s_clause 0xd
	buffer_load_dword v217, off, s[56:59], 0 offset:88
	buffer_load_dword v218, off, s[56:59], 0 offset:92
	;; [unrolled: 1-line block ×14, first 2 shown]
	v_add_f64 v[42:43], v[155:156], v[42:43]
	s_waitcnt vmcnt(12)
	v_add_f64 v[151:152], v[151:152], -v[217:218]
	v_mul_f64 v[217:218], v[171:172], s[18:19]
	v_add_f64 v[40:41], v[151:152], v[40:41]
	s_waitcnt vmcnt(10)
	v_add_f64 v[217:218], v[220:221], v[217:218]
	v_mul_f64 v[220:221], v[167:168], s[18:19]
	v_add_f64 v[52:53], v[217:218], v[60:61]
	s_waitcnt vmcnt(8)
	v_add_f64 v[220:221], v[220:221], -v[222:223]
	v_mul_f64 v[222:223], v[171:172], s[10:11]
	v_add_f64 v[88:89], v[220:221], v[62:63]
	s_waitcnt vmcnt(6)
	v_add_f64 v[222:223], v[224:225], v[222:223]
	v_mul_f64 v[224:225], v[167:168], s[10:11]
	v_add_f64 v[60:61], v[222:223], v[64:65]
	s_waitcnt vmcnt(4)
	v_add_f64 v[224:225], v[224:225], -v[226:227]
	v_mul_f64 v[226:227], v[171:172], s[8:9]
	v_mul_f64 v[171:172], v[171:172], s[20:21]
	v_add_f64 v[66:67], v[224:225], v[66:67]
	s_waitcnt vmcnt(2)
	v_add_f64 v[226:227], v[228:229], v[226:227]
	v_mul_f64 v[228:229], v[167:168], s[8:9]
	v_mul_f64 v[167:168], v[167:168], s[20:21]
	v_add_f64 v[64:65], v[226:227], v[72:73]
	s_waitcnt vmcnt(0)
	v_add_f64 v[228:229], v[228:229], -v[230:231]
	s_clause 0x1
	buffer_load_dword v230, off, s[56:59], 0 offset:128
	buffer_load_dword v231, off, s[56:59], 0 offset:132
	v_add_f64 v[74:75], v[228:229], v[74:75]
	s_waitcnt vmcnt(0)
	v_add_f64 v[171:172], v[230:231], v[171:172]
	s_clause 0xd
	buffer_load_dword v230, off, s[56:59], 0 offset:120
	buffer_load_dword v231, off, s[56:59], 0 offset:124
	;; [unrolled: 1-line block ×14, first 2 shown]
	v_add_f64 v[72:73], v[171:172], v[42:43]
	v_add_f64 v[42:43], v[100:101], v[50:51]
	s_waitcnt vmcnt(12)
	v_add_f64 v[167:168], v[167:168], -v[230:231]
	v_mul_f64 v[230:231], v[163:164], s[6:7]
	s_waitcnt vmcnt(8)
	v_add_f64 v[84:85], v[84:85], -v[98:99]
	s_waitcnt vmcnt(6)
	v_add_f64 v[82:83], v[96:97], v[82:83]
	s_waitcnt vmcnt(4)
	v_add_f64 v[80:81], v[80:81], -v[94:95]
	s_waitcnt vmcnt(2)
	v_add_f64 v[78:79], v[92:93], v[78:79]
	s_clause 0x3
	buffer_load_dword v92, off, s[56:59], 0 offset:112
	buffer_load_dword v93, off, s[56:59], 0 offset:116
	;; [unrolled: 1-line block ×4, first 2 shown]
	s_waitcnt vmcnt(4)
	v_add_f64 v[76:77], v[76:77], -v[90:91]
	v_mul_f64 v[90:91], v[163:164], s[22:23]
	v_mov_b32_e32 v96, 4
	v_lshlrev_b32_sdwa v0, v96, v219 dst_sel:DWORD dst_unused:UNUSED_PAD src0_sel:DWORD src1_sel:WORD_0
	v_add_f64 v[40:41], v[167:168], v[40:41]
	v_add_f64 v[230:231], v[232:233], v[230:231]
	;; [unrolled: 1-line block ×7, first 2 shown]
	s_waitcnt vmcnt(2)
	v_add_f64 v[90:91], v[92:93], v[90:91]
	v_mul_f64 v[92:93], v[159:160], s[22:23]
	v_add_f64 v[62:63], v[90:91], v[72:73]
	s_waitcnt vmcnt(0)
	v_add_f64 v[92:93], v[92:93], -v[94:95]
	v_add_f64 v[94:95], v[124:125], v[54:55]
	v_add_f64 v[54:55], v[78:79], v[64:65]
	;; [unrolled: 1-line block ×4, first 2 shown]
	ds_write_b128 v0, v[28:31] offset:112
	ds_write_b128 v0, v[56:59] offset:128
	;; [unrolled: 1-line block ×15, first 2 shown]
	ds_write_b128 v0, v[32:35]
	ds_write_b128 v0, v[235:238] offset:256
.LBB0_7:
	s_or_b32 exec_lo, exec_lo, s24
	v_and_b32_e32 v0, 0xff, v128
	s_load_dwordx4 s[4:7], s[2:3], 0x0
	s_waitcnt lgkmcnt(0)
	s_barrier
	buffer_gl0_inv
	v_mul_lo_u16 v0, 0xf1, v0
	s_mov_b32 s8, 0x37e14327
	s_mov_b32 s18, 0xe976ee23
	;; [unrolled: 1-line block ×4, first 2 shown]
	v_lshrrev_b16 v108, 12, v0
	s_mov_b32 s10, 0x429ad128
	s_mov_b32 s2, 0x36b3c0b5
	;; [unrolled: 1-line block ×4, first 2 shown]
	v_mul_lo_u16 v0, v108, 17
	s_mov_b32 s16, 0xaaaaaaaa
	s_mov_b32 s24, 0xb247c609
	;; [unrolled: 1-line block ×4, first 2 shown]
	v_sub_nc_u16 v0, v128, v0
	s_mov_b32 s25, 0x3fd5d0dc
	s_mov_b32 s21, 0x3fe77f67
	;; [unrolled: 1-line block ×4, first 2 shown]
	v_and_b32_e32 v109, 0xff, v0
	s_mov_b32 s22, s20
	s_mov_b32 s26, s24
	;; [unrolled: 1-line block ×4, first 2 shown]
	v_mul_u32_u24_e32 v0, 6, v109
	v_lshlrev_b32_e32 v0, 4, v0
	s_clause 0x5
	global_load_dwordx4 v[36:39], v0, s[0:1]
	global_load_dwordx4 v[32:35], v0, s[0:1] offset:16
	global_load_dwordx4 v[40:43], v0, s[0:1] offset:80
	;; [unrolled: 1-line block ×5, first 2 shown]
	ds_read_b128 v[60:63], v255 offset:1904
	ds_read_b128 v[64:67], v255 offset:3808
	;; [unrolled: 1-line block ×6, first 2 shown]
	s_waitcnt vmcnt(5) lgkmcnt(5)
	v_mul_f64 v[0:1], v[62:63], v[38:39]
	v_mul_f64 v[2:3], v[60:61], v[38:39]
	s_waitcnt vmcnt(4) lgkmcnt(4)
	v_mul_f64 v[88:89], v[66:67], v[34:35]
	v_mul_f64 v[90:91], v[64:65], v[34:35]
	;; [unrolled: 3-line block ×6, first 2 shown]
	v_fma_f64 v[0:1], v[60:61], v[36:37], -v[0:1]
	v_fma_f64 v[2:3], v[62:63], v[36:37], v[2:3]
	v_fma_f64 v[60:61], v[64:65], v[32:33], -v[88:89]
	v_fma_f64 v[62:63], v[66:67], v[32:33], v[90:91]
	;; [unrolled: 2-line block ×6, first 2 shown]
	v_add_f64 v[84:85], v[0:1], v[64:65]
	v_add_f64 v[86:87], v[2:3], v[66:67]
	;; [unrolled: 1-line block ×4, first 2 shown]
	v_add_f64 v[72:73], v[60:61], -v[72:73]
	v_add_f64 v[74:75], v[62:63], -v[74:75]
	v_add_f64 v[92:93], v[76:77], v[80:81]
	v_add_f64 v[94:95], v[78:79], v[82:83]
	v_add_f64 v[76:77], v[80:81], -v[76:77]
	v_add_f64 v[78:79], v[82:83], -v[78:79]
	;; [unrolled: 1-line block ×4, first 2 shown]
	ds_read_b128 v[60:63], v255
	s_waitcnt lgkmcnt(0)
	s_barrier
	buffer_gl0_inv
	v_add_f64 v[64:65], v[88:89], v[84:85]
	v_add_f64 v[66:67], v[90:91], v[86:87]
	v_add_f64 v[80:81], v[84:85], -v[92:93]
	v_add_f64 v[82:83], v[86:87], -v[94:95]
	;; [unrolled: 1-line block ×6, first 2 shown]
	v_add_f64 v[72:73], v[76:77], v[72:73]
	v_add_f64 v[74:75], v[78:79], v[74:75]
	v_add_f64 v[76:77], v[0:1], -v[76:77]
	v_add_f64 v[78:79], v[2:3], -v[78:79]
	;; [unrolled: 1-line block ×4, first 2 shown]
	v_add_f64 v[64:65], v[92:93], v[64:65]
	v_add_f64 v[66:67], v[94:95], v[66:67]
	v_add_f64 v[92:93], v[92:93], -v[88:89]
	v_add_f64 v[94:95], v[94:95], -v[90:91]
	v_mul_f64 v[80:81], v[80:81], s[8:9]
	v_mul_f64 v[82:83], v[82:83], s[8:9]
	;; [unrolled: 1-line block ×6, first 2 shown]
	v_add_f64 v[0:1], v[72:73], v[0:1]
	v_add_f64 v[2:3], v[74:75], v[2:3]
	;; [unrolled: 1-line block ×4, first 2 shown]
	v_mul_f64 v[88:89], v[92:93], s[2:3]
	v_mul_f64 v[90:91], v[94:95], s[2:3]
	v_fma_f64 v[72:73], v[92:93], s[2:3], v[80:81]
	v_fma_f64 v[74:75], v[94:95], s[2:3], v[82:83]
	;; [unrolled: 1-line block ×4, first 2 shown]
	v_fma_f64 v[96:97], v[100:101], s[10:11], -v[96:97]
	v_fma_f64 v[98:99], v[102:103], s[10:11], -v[98:99]
	;; [unrolled: 1-line block ×6, first 2 shown]
	v_mov_b32_e32 v104, 0x77
	v_fma_f64 v[64:65], v[64:65], s[16:17], v[60:61]
	v_fma_f64 v[66:67], v[66:67], s[16:17], v[62:63]
	v_fma_f64 v[84:85], v[84:85], s[20:21], -v[88:89]
	v_fma_f64 v[86:87], v[86:87], s[20:21], -v[90:91]
	v_fma_f64 v[90:91], v[0:1], s[28:29], v[92:93]
	v_fma_f64 v[88:89], v[2:3], s[28:29], v[94:95]
	;; [unrolled: 1-line block ×6, first 2 shown]
	v_add_f64 v[96:97], v[72:73], v[64:65]
	v_add_f64 v[98:99], v[74:75], v[66:67]
	;; [unrolled: 1-line block ×7, first 2 shown]
	v_add_f64 v[66:67], v[98:99], -v[90:91]
	v_add_f64 v[72:73], v[2:3], v[100:101]
	v_add_f64 v[74:75], v[102:103], -v[0:1]
	v_add_f64 v[76:77], v[80:81], -v[94:95]
	v_add_f64 v[78:79], v[92:93], v[82:83]
	v_add_f64 v[80:81], v[94:95], v[80:81]
	v_add_f64 v[82:83], v[82:83], -v[92:93]
	v_add_f64 v[84:85], v[100:101], -v[2:3]
	v_add_f64 v[86:87], v[0:1], v[102:103]
	v_add_f64 v[88:89], v[96:97], -v[88:89]
	v_add_f64 v[90:91], v[90:91], v[98:99]
	v_mul_u32_u24_sdwa v0, v108, v104 dst_sel:DWORD dst_unused:UNUSED_PAD src0_sel:WORD_0 src1_sel:DWORD
	v_add_lshl_u32 v161, v0, v109, 4
	v_mad_u64_u32 v[0:1], null, 0x60, v128, s[0:1]
	ds_write_b128 v161, v[60:63]
	ds_write_b128 v161, v[64:67] offset:272
	ds_write_b128 v161, v[72:75] offset:544
	;; [unrolled: 1-line block ×6, first 2 shown]
	s_waitcnt lgkmcnt(0)
	s_barrier
	buffer_gl0_inv
	s_clause 0x5
	global_load_dwordx4 v[64:67], v[0:1], off offset:1632
	global_load_dwordx4 v[60:63], v[0:1], off offset:1648
	;; [unrolled: 1-line block ×6, first 2 shown]
	ds_read_b128 v[88:91], v255 offset:1904
	ds_read_b128 v[92:95], v255 offset:3808
	;; [unrolled: 1-line block ×6, first 2 shown]
	s_waitcnt vmcnt(5) lgkmcnt(5)
	v_mul_f64 v[0:1], v[90:91], v[66:67]
	v_mul_f64 v[2:3], v[88:89], v[66:67]
	s_waitcnt vmcnt(4) lgkmcnt(4)
	v_mul_f64 v[112:113], v[94:95], v[62:63]
	v_mul_f64 v[114:115], v[92:93], v[62:63]
	;; [unrolled: 3-line block ×6, first 2 shown]
	v_fma_f64 v[0:1], v[88:89], v[64:65], -v[0:1]
	v_fma_f64 v[2:3], v[90:91], v[64:65], v[2:3]
	v_fma_f64 v[88:89], v[92:93], v[60:61], -v[112:113]
	v_fma_f64 v[90:91], v[94:95], v[60:61], v[114:115]
	;; [unrolled: 2-line block ×6, first 2 shown]
	v_add_f64 v[108:109], v[0:1], v[92:93]
	v_add_f64 v[110:111], v[2:3], v[94:95]
	;; [unrolled: 1-line block ×4, first 2 shown]
	v_add_f64 v[96:97], v[88:89], -v[96:97]
	v_add_f64 v[98:99], v[90:91], -v[98:99]
	v_add_f64 v[116:117], v[100:101], v[104:105]
	v_add_f64 v[118:119], v[102:103], v[106:107]
	v_add_f64 v[100:101], v[104:105], -v[100:101]
	v_add_f64 v[102:103], v[106:107], -v[102:103]
	v_add_f64 v[0:1], v[0:1], -v[92:93]
	v_add_f64 v[2:3], v[2:3], -v[94:95]
	v_add_f64 v[88:89], v[112:113], v[108:109]
	v_add_f64 v[90:91], v[114:115], v[110:111]
	v_add_f64 v[92:93], v[108:109], -v[116:117]
	v_add_f64 v[94:95], v[110:111], -v[118:119]
	;; [unrolled: 1-line block ×6, first 2 shown]
	v_add_f64 v[96:97], v[100:101], v[96:97]
	v_add_f64 v[98:99], v[102:103], v[98:99]
	v_add_f64 v[100:101], v[0:1], -v[100:101]
	v_add_f64 v[102:103], v[2:3], -v[102:103]
	;; [unrolled: 1-line block ×4, first 2 shown]
	v_add_f64 v[124:125], v[116:117], v[88:89]
	v_add_f64 v[126:127], v[118:119], v[90:91]
	v_add_f64 v[116:117], v[116:117], -v[112:113]
	v_add_f64 v[118:119], v[118:119], -v[114:115]
	ds_read_b128 v[88:91], v255
	v_mul_f64 v[92:93], v[92:93], s[8:9]
	v_mul_f64 v[94:95], v[94:95], s[8:9]
	;; [unrolled: 1-line block ×6, first 2 shown]
	v_add_f64 v[0:1], v[96:97], v[0:1]
	v_add_f64 v[2:3], v[98:99], v[2:3]
	s_waitcnt lgkmcnt(0)
	v_add_f64 v[88:89], v[88:89], v[124:125]
	v_add_f64 v[90:91], v[90:91], v[126:127]
	v_mul_f64 v[112:113], v[116:117], s[2:3]
	v_mul_f64 v[114:115], v[118:119], s[2:3]
	v_fma_f64 v[96:97], v[116:117], s[2:3], v[92:93]
	v_fma_f64 v[98:99], v[118:119], s[2:3], v[94:95]
	;; [unrolled: 1-line block ×4, first 2 shown]
	v_fma_f64 v[104:105], v[120:121], s[10:11], -v[104:105]
	v_fma_f64 v[106:107], v[122:123], s[10:11], -v[106:107]
	;; [unrolled: 1-line block ×6, first 2 shown]
	v_fma_f64 v[120:121], v[124:125], s[16:17], v[88:89]
	v_fma_f64 v[122:123], v[126:127], s[16:17], v[90:91]
	v_fma_f64 v[108:109], v[108:109], s[20:21], -v[112:113]
	v_fma_f64 v[110:111], v[110:111], s[20:21], -v[114:115]
	v_fma_f64 v[116:117], v[0:1], s[28:29], v[116:117]
	v_fma_f64 v[118:119], v[2:3], s[28:29], v[118:119]
	;; [unrolled: 1-line block ×6, first 2 shown]
	v_add_f64 v[100:101], v[96:97], v[120:121]
	v_add_f64 v[102:103], v[98:99], v[122:123]
	;; [unrolled: 1-line block ×7, first 2 shown]
	v_add_f64 v[114:115], v[102:103], -v[116:117]
	v_add_f64 v[108:109], v[2:3], v[124:125]
	v_add_f64 v[110:111], v[126:127], -v[0:1]
	v_add_f64 v[92:93], v[96:97], -v[106:107]
	v_add_f64 v[94:95], v[104:105], v[98:99]
	v_add_f64 v[96:97], v[106:107], v[96:97]
	v_add_f64 v[98:99], v[98:99], -v[104:105]
	v_add_f64 v[104:105], v[124:125], -v[2:3]
	v_add_f64 v[106:107], v[0:1], v[126:127]
	v_add_f64 v[100:101], v[100:101], -v[118:119]
	v_add_f64 v[102:103], v[116:117], v[102:103]
	ds_write_b128 v255, v[88:91]
	ds_write_b128 v255, v[112:115] offset:1904
	ds_write_b128 v255, v[108:111] offset:3808
	;; [unrolled: 1-line block ×6, first 2 shown]
	s_waitcnt lgkmcnt(0)
	s_barrier
	buffer_gl0_inv
	s_and_saveexec_b32 s1, vcc_lo
	s_cbranch_execz .LBB0_9
; %bb.8:
	v_add_co_u32 v129, s0, s12, v255
	v_add_co_ci_u32_e64 v130, null, s13, 0, s0
	v_add_co_u32 v0, s0, 0x3000, v129
	v_add_co_ci_u32_e64 v1, s0, 0, v130, s0
	global_load_dwordx4 v[116:119], v[0:1], off offset:1040
	v_add_co_u32 v0, s0, 0x3410, v129
	v_add_co_ci_u32_e64 v1, s0, 0, v130, s0
	v_add_co_u32 v2, s0, 0x3800, v129
	v_add_co_ci_u32_e64 v3, s0, 0, v130, s0
	s_clause 0x1
	global_load_dwordx4 v[120:123], v[0:1], off offset:784
	global_load_dwordx4 v[124:127], v[0:1], off offset:1568
	v_add_co_u32 v0, s0, 0x4000, v129
	v_add_co_ci_u32_e64 v1, s0, 0, v130, s0
	s_clause 0x2
	global_load_dwordx4 v[131:134], v[2:3], off offset:1344
	global_load_dwordx4 v[135:138], v[0:1], off offset:80
	;; [unrolled: 1-line block ×3, first 2 shown]
	v_add_co_u32 v2, s0, 0x4800, v129
	v_add_co_ci_u32_e64 v3, s0, 0, v130, s0
	s_clause 0x3
	global_load_dwordx4 v[143:146], v[0:1], off offset:1648
	global_load_dwordx4 v[147:150], v[2:3], off offset:384
	;; [unrolled: 1-line block ×4, first 2 shown]
	v_add_co_u32 v0, s0, 0x5000, v129
	v_add_co_ci_u32_e64 v1, s0, 0, v130, s0
	v_add_co_u32 v2, s0, 0x5800, v129
	v_add_co_ci_u32_e64 v3, s0, 0, v130, s0
	s_clause 0x3
	global_load_dwordx4 v[162:165], v[0:1], off offset:688
	global_load_dwordx4 v[166:169], v[0:1], off offset:1472
	;; [unrolled: 1-line block ×4, first 2 shown]
	v_add_co_u32 v0, s0, 0x6000, v129
	v_add_co_ci_u32_e64 v1, s0, 0, v130, s0
	s_clause 0x2
	global_load_dwordx4 v[178:181], v[2:3], off offset:1776
	global_load_dwordx4 v[182:185], v[0:1], off offset:512
	;; [unrolled: 1-line block ×3, first 2 shown]
	ds_read_b128 v[190:193], v255
	ds_read_b128 v[194:197], v255 offset:784
	ds_read_b128 v[198:201], v255 offset:1568
	;; [unrolled: 1-line block ×7, first 2 shown]
	s_waitcnt vmcnt(16) lgkmcnt(7)
	v_mul_f64 v[0:1], v[192:193], v[118:119]
	v_mul_f64 v[2:3], v[190:191], v[118:119]
	s_waitcnt vmcnt(15) lgkmcnt(6)
	v_mul_f64 v[129:130], v[196:197], v[122:123]
	v_mul_f64 v[122:123], v[194:195], v[122:123]
	;; [unrolled: 3-line block ×4, first 2 shown]
	s_waitcnt vmcnt(12) lgkmcnt(3)
	v_mul_f64 v[226:227], v[208:209], v[137:138]
	s_waitcnt vmcnt(10) lgkmcnt(1)
	v_mul_f64 v[228:229], v[216:217], v[145:146]
	v_fma_f64 v[190:191], v[190:191], v[116:117], -v[0:1]
	v_fma_f64 v[192:193], v[192:193], v[116:117], v[2:3]
	ds_read_b128 v[116:119], v255 offset:6272
	v_mul_f64 v[0:1], v[206:207], v[137:138]
	v_mul_f64 v[2:3], v[212:213], v[141:142]
	;; [unrolled: 1-line block ×4, first 2 shown]
	s_waitcnt vmcnt(9) lgkmcnt(1)
	v_mul_f64 v[230:231], v[222:223], v[149:150]
	v_mul_f64 v[149:150], v[220:221], v[149:150]
	v_fma_f64 v[194:195], v[194:195], v[120:121], -v[129:130]
	v_fma_f64 v[196:197], v[196:197], v[120:121], v[122:123]
	ds_read_b128 v[120:123], v255 offset:7056
	v_fma_f64 v[198:199], v[198:199], v[124:125], -v[159:160]
	v_fma_f64 v[200:201], v[200:201], v[124:125], v[126:127]
	ds_read_b128 v[124:127], v255 offset:7840
	;; [unrolled: 3-line block ×3, first 2 shown]
	v_fma_f64 v[133:134], v[206:207], v[135:136], -v[226:227]
	s_waitcnt vmcnt(8) lgkmcnt(3)
	v_mul_f64 v[232:233], v[118:119], v[153:154]
	v_mul_f64 v[153:154], v[116:117], v[153:154]
	v_fma_f64 v[135:136], v[208:209], v[135:136], v[0:1]
	v_fma_f64 v[137:138], v[210:211], v[139:140], -v[2:3]
	ds_read_b128 v[206:209], v255 offset:9408
	ds_read_b128 v[224:227], v255 offset:10192
	v_fma_f64 v[139:140], v[212:213], v[139:140], v[141:142]
	v_fma_f64 v[141:142], v[214:215], v[143:144], -v[228:229]
	v_fma_f64 v[143:144], v[216:217], v[143:144], v[145:146]
	s_waitcnt vmcnt(7) lgkmcnt(4)
	v_mul_f64 v[0:1], v[122:123], v[157:158]
	v_mul_f64 v[2:3], v[120:121], v[157:158]
	ds_read_b128 v[157:160], v255 offset:10976
	ds_read_b128 v[210:213], v255 offset:11760
	;; [unrolled: 1-line block ×3, first 2 shown]
	s_waitcnt vmcnt(6) lgkmcnt(6)
	v_mul_f64 v[228:229], v[126:127], v[164:165]
	v_mul_f64 v[164:165], v[124:125], v[164:165]
	v_fma_f64 v[145:146], v[220:221], v[147:148], -v[230:231]
	v_fma_f64 v[147:148], v[222:223], v[147:148], v[149:150]
	s_waitcnt vmcnt(5) lgkmcnt(5)
	v_mul_f64 v[149:150], v[204:205], v[168:169]
	v_mul_f64 v[168:169], v[202:203], v[168:169]
	v_fma_f64 v[116:117], v[116:117], v[151:152], -v[232:233]
	v_fma_f64 v[118:119], v[118:119], v[151:152], v[153:154]
	s_waitcnt vmcnt(4) lgkmcnt(4)
	v_mul_f64 v[153:154], v[208:209], v[172:173]
	v_mul_f64 v[172:173], v[206:207], v[172:173]
	s_waitcnt vmcnt(3) lgkmcnt(3)
	v_mul_f64 v[220:221], v[226:227], v[176:177]
	v_mul_f64 v[176:177], v[224:225], v[176:177]
	v_fma_f64 v[120:121], v[120:121], v[155:156], -v[0:1]
	v_fma_f64 v[122:123], v[122:123], v[155:156], v[2:3]
	s_waitcnt vmcnt(2) lgkmcnt(2)
	v_mul_f64 v[0:1], v[159:160], v[180:181]
	v_mul_f64 v[2:3], v[157:158], v[180:181]
	s_waitcnt vmcnt(1) lgkmcnt(1)
	v_mul_f64 v[180:181], v[212:213], v[184:185]
	v_mul_f64 v[184:185], v[210:211], v[184:185]
	;; [unrolled: 3-line block ×3, first 2 shown]
	v_fma_f64 v[124:125], v[124:125], v[162:163], -v[228:229]
	v_fma_f64 v[126:127], v[126:127], v[162:163], v[164:165]
	v_fma_f64 v[149:150], v[202:203], v[166:167], -v[149:150]
	v_fma_f64 v[151:152], v[204:205], v[166:167], v[168:169]
	;; [unrolled: 2-line block ×7, first 2 shown]
	ds_write_b128 v255, v[190:193]
	ds_write_b128 v255, v[194:197] offset:784
	ds_write_b128 v255, v[198:201] offset:1568
	;; [unrolled: 1-line block ×16, first 2 shown]
.LBB0_9:
	s_or_b32 exec_lo, exec_lo, s1
	s_waitcnt lgkmcnt(0)
	s_barrier
	buffer_gl0_inv
	s_and_saveexec_b32 s0, vcc_lo
	s_cbranch_execz .LBB0_11
; %bb.10:
	ds_read_b128 v[88:91], v255
	ds_read_b128 v[112:115], v255 offset:784
	ds_read_b128 v[108:111], v255 offset:1568
	;; [unrolled: 1-line block ×16, first 2 shown]
.LBB0_11:
	s_or_b32 exec_lo, exec_lo, s0
	s_waitcnt lgkmcnt(0)
	s_barrier
	buffer_gl0_inv
	s_and_saveexec_b32 s33, vcc_lo
	s_cbranch_execz .LBB0_13
; %bb.12:
	v_add_f64 v[0:1], v[90:91], v[114:115]
	v_add_f64 v[2:3], v[88:89], v[112:113]
	v_add_f64 v[159:160], v[112:113], -v[235:236]
	v_add_f64 v[153:154], v[114:115], -v[237:238]
	s_mov_b32 s2, 0xacd6c6b4
	s_mov_b32 s3, 0xbfc7851a
	v_add_f64 v[126:127], v[108:109], -v[4:5]
	v_add_f64 v[157:158], v[114:115], v[237:238]
	v_add_f64 v[129:130], v[110:111], -v[6:7]
	v_add_f64 v[155:156], v[112:113], v[235:236]
	s_mov_b32 s8, 0x5d8e7cdc
	s_mov_b32 s0, 0x7faef3
	;; [unrolled: 1-line block ×4, first 2 shown]
	v_add_f64 v[124:125], v[92:93], -v[8:9]
	v_add_f64 v[135:136], v[110:111], v[6:7]
	v_add_f64 v[141:142], v[108:109], v[4:5]
	s_mov_b32 s10, 0x370991
	s_mov_b32 s18, 0x4363dd80
	;; [unrolled: 1-line block ×4, first 2 shown]
	v_add_f64 v[131:132], v[96:97], -v[12:13]
	v_add_f64 v[0:1], v[0:1], v[110:111]
	v_add_f64 v[2:3], v[2:3], v[108:109]
	v_mul_f64 v[133:134], v[159:160], s[2:3]
	v_mul_f64 v[139:140], v[153:154], s[2:3]
	v_add_f64 v[110:111], v[94:95], -v[10:11]
	v_add_f64 v[151:152], v[94:95], v[10:11]
	v_mul_f64 v[162:163], v[126:127], s[8:9]
	v_add_f64 v[145:146], v[98:99], -v[14:15]
	v_mul_f64 v[164:165], v[129:130], s[8:9]
	v_add_f64 v[149:150], v[92:93], v[8:9]
	s_mov_b32 s26, 0x2a9d6da3
	s_mov_b32 s16, 0x910ea3b9
	;; [unrolled: 1-line block ×4, first 2 shown]
	v_add_f64 v[114:115], v[56:57], -v[68:69]
	v_add_f64 v[112:113], v[58:59], v[70:71]
	v_add_f64 v[116:117], v[28:29], -v[24:25]
	v_add_f64 v[118:119], v[100:101], -v[20:21]
	;; [unrolled: 1-line block ×3, first 2 shown]
	v_add_f64 v[120:121], v[106:107], v[18:19]
	v_add_f64 v[147:148], v[98:99], v[14:15]
	v_add_f64 v[137:138], v[106:107], -v[18:19]
	v_add_f64 v[0:1], v[0:1], v[94:95]
	v_add_f64 v[2:3], v[2:3], v[92:93]
	v_fma_f64 v[108:109], v[157:158], s[0:1], v[133:134]
	v_fma_f64 v[166:167], v[155:156], s[0:1], -v[139:140]
	v_fma_f64 v[168:169], v[157:158], s[0:1], -v[133:134]
	v_mul_f64 v[92:93], v[124:125], s[18:19]
	v_mul_f64 v[94:95], v[110:111], s[18:19]
	v_fma_f64 v[170:171], v[135:136], s[10:11], v[162:163]
	v_fma_f64 v[172:173], v[155:156], s[0:1], v[139:140]
	v_fma_f64 v[176:177], v[141:142], s[10:11], -v[164:165]
	v_fma_f64 v[162:163], v[135:136], s[10:11], -v[162:163]
	v_add_f64 v[143:144], v[96:97], v[12:13]
	v_add_f64 v[133:134], v[104:105], v[16:17]
	v_add_f64 v[139:140], v[102:103], -v[22:23]
	s_mov_b32 s20, 0x75d4884
	s_mov_b32 s24, 0x6c9a05f6
	;; [unrolled: 1-line block ×8, first 2 shown]
	v_add_f64 v[0:1], v[0:1], v[98:99]
	v_add_f64 v[2:3], v[2:3], v[96:97]
	;; [unrolled: 1-line block ×6, first 2 shown]
	v_add_f64 v[98:99], v[58:59], -v[70:71]
	v_add_f64 v[108:109], v[102:103], v[22:23]
	s_mov_b32 s28, 0x2b2883cd
	s_mov_b32 s38, 0x923c349f
	;; [unrolled: 1-line block ×14, first 2 shown]
	v_add_f64 v[0:1], v[0:1], v[106:107]
	v_add_f64 v[2:3], v[2:3], v[104:105]
	v_add_f64 v[104:105], v[30:31], v[26:27]
	v_add_f64 v[106:107], v[30:31], -v[26:27]
	v_add_f64 v[162:163], v[162:163], v[168:169]
	v_mul_f64 v[168:169], v[126:127], s[30:31]
	s_mov_b32 s45, 0xbfd71e95
	s_mov_b32 s44, s8
	v_mul_f64 v[188:189], v[114:115], s[38:39]
	v_mul_f64 v[190:191], v[98:99], s[38:39]
	s_mov_b32 s43, 0x3feec746
	s_mov_b32 s42, s38
	;; [unrolled: 1-line block ×8, first 2 shown]
	v_add_f64 v[0:1], v[0:1], v[102:103]
	v_add_f64 v[2:3], v[2:3], v[100:101]
	;; [unrolled: 1-line block ×6, first 2 shown]
	v_mul_f64 v[28:29], v[131:132], s[26:27]
	v_fma_f64 v[30:31], v[141:142], s[10:11], v[164:165]
	v_fma_f64 v[164:165], v[149:150], s[16:17], -v[94:95]
	v_fma_f64 v[94:95], v[149:150], s[16:17], v[94:95]
	v_add_f64 v[0:1], v[0:1], v[58:59]
	v_add_f64 v[2:3], v[2:3], v[56:57]
	;; [unrolled: 1-line block ×6, first 2 shown]
	v_fma_f64 v[68:69], v[151:152], s[16:17], v[92:93]
	v_add_f64 v[70:71], v[176:177], v[166:167]
	v_mul_f64 v[166:167], v[145:146], s[26:27]
	v_fma_f64 v[92:93], v[151:152], s[16:17], -v[92:93]
	v_add_f64 v[30:31], v[30:31], v[56:57]
	v_mul_f64 v[56:57], v[122:123], s[24:25]
	v_add_f64 v[0:1], v[0:1], v[26:27]
	v_add_f64 v[2:3], v[2:3], v[24:25]
	;; [unrolled: 1-line block ×3, first 2 shown]
	v_fma_f64 v[68:69], v[147:148], s[20:21], v[28:29]
	v_add_f64 v[70:71], v[164:165], v[70:71]
	v_fma_f64 v[164:165], v[143:144], s[20:21], -v[166:167]
	v_add_f64 v[92:93], v[92:93], v[162:163]
	v_mul_f64 v[162:163], v[137:138], s[24:25]
	v_fma_f64 v[28:29], v[147:148], s[20:21], -v[28:29]
	v_add_f64 v[30:31], v[94:95], v[30:31]
	v_mul_f64 v[94:95], v[118:119], s[30:31]
	v_fma_f64 v[166:167], v[143:144], s[20:21], v[166:167]
	v_mul_f64 v[24:25], v[126:127], s[42:43]
	v_add_f64 v[0:1], v[0:1], v[22:23]
	v_add_f64 v[2:3], v[2:3], v[20:21]
	;; [unrolled: 1-line block ×3, first 2 shown]
	v_fma_f64 v[68:69], v[120:121], s[22:23], v[56:57]
	v_add_f64 v[70:71], v[164:165], v[70:71]
	v_fma_f64 v[56:57], v[120:121], s[22:23], -v[56:57]
	v_fma_f64 v[164:165], v[133:134], s[22:23], -v[162:163]
	v_add_f64 v[28:29], v[28:29], v[92:93]
	v_mul_f64 v[92:93], v[139:140], s[30:31]
	v_fma_f64 v[162:163], v[133:134], s[22:23], v[162:163]
	v_add_f64 v[30:31], v[166:167], v[30:31]
	v_mul_f64 v[166:167], v[116:117], s[38:39]
	v_fma_f64 v[20:21], v[135:136], s[36:37], v[24:25]
	v_fma_f64 v[24:25], v[135:136], s[36:37], -v[24:25]
	v_add_f64 v[0:1], v[0:1], v[18:19]
	v_add_f64 v[2:3], v[2:3], v[16:17]
	v_mul_f64 v[18:19], v[110:111], s[44:45]
	v_add_f64 v[58:59], v[68:69], v[58:59]
	v_fma_f64 v[68:69], v[108:109], s[28:29], v[94:95]
	v_fma_f64 v[94:95], v[108:109], s[28:29], -v[94:95]
	v_add_f64 v[70:71], v[164:165], v[70:71]
	v_add_f64 v[28:29], v[56:57], v[28:29]
	v_fma_f64 v[164:165], v[102:103], s[28:29], -v[92:93]
	v_mul_f64 v[56:57], v[106:107], s[38:39]
	v_add_f64 v[30:31], v[162:163], v[30:31]
	v_fma_f64 v[92:93], v[102:103], s[28:29], v[92:93]
	v_mul_f64 v[162:163], v[114:115], s[48:49]
	v_add_f64 v[0:1], v[0:1], v[14:15]
	v_add_f64 v[2:3], v[2:3], v[12:13]
	;; [unrolled: 1-line block ×3, first 2 shown]
	v_fma_f64 v[68:69], v[104:105], s[36:37], v[166:167]
	v_fma_f64 v[166:167], v[104:105], s[36:37], -v[166:167]
	v_add_f64 v[28:29], v[94:95], v[28:29]
	v_add_f64 v[70:71], v[164:165], v[70:71]
	v_fma_f64 v[164:165], v[100:101], s[36:37], -v[56:57]
	v_mul_f64 v[94:95], v[98:99], s[48:49]
	v_add_f64 v[30:31], v[92:93], v[30:31]
	v_mul_f64 v[92:93], v[159:160], s[18:19]
	v_fma_f64 v[56:57], v[100:101], s[36:37], v[56:57]
	v_add_f64 v[0:1], v[0:1], v[10:11]
	v_add_f64 v[2:3], v[2:3], v[8:9]
	;; [unrolled: 1-line block ×3, first 2 shown]
	v_fma_f64 v[68:69], v[112:113], s[34:35], v[162:163]
	v_add_f64 v[166:167], v[166:167], v[28:29]
	v_fma_f64 v[162:163], v[112:113], s[34:35], -v[162:163]
	v_add_f64 v[70:71], v[164:165], v[70:71]
	v_fma_f64 v[164:165], v[96:97], s[34:35], -v[94:95]
	v_fma_f64 v[94:95], v[96:97], s[34:35], v[94:95]
	v_fma_f64 v[170:171], v[157:158], s[16:17], v[92:93]
	v_add_f64 v[56:57], v[56:57], v[30:31]
	v_fma_f64 v[92:93], v[157:158], s[16:17], -v[92:93]
	v_add_f64 v[0:1], v[0:1], v[6:7]
	v_add_f64 v[2:3], v[2:3], v[4:5]
	v_mul_f64 v[4:5], v[126:127], s[54:55]
	v_add_f64 v[30:31], v[68:69], v[58:59]
	v_fma_f64 v[68:69], v[135:136], s[28:29], v[168:169]
	v_add_f64 v[58:59], v[162:163], v[166:167]
	v_fma_f64 v[168:169], v[135:136], s[28:29], -v[168:169]
	v_add_f64 v[28:29], v[164:165], v[70:71]
	v_mul_f64 v[164:165], v[153:154], s[18:19]
	v_add_f64 v[70:71], v[90:91], v[170:171]
	v_add_f64 v[56:57], v[94:95], v[56:57]
	v_mul_f64 v[94:95], v[129:130], s[30:31]
	v_add_f64 v[92:93], v[90:91], v[92:93]
	v_fma_f64 v[6:7], v[135:136], s[16:17], -v[4:5]
	v_fma_f64 v[4:5], v[135:136], s[16:17], v[4:5]
	v_fma_f64 v[162:163], v[155:156], s[16:17], -v[164:165]
	v_add_f64 v[68:69], v[68:69], v[70:71]
	v_fma_f64 v[70:71], v[141:142], s[28:29], -v[94:95]
	v_add_f64 v[92:93], v[168:169], v[92:93]
	v_fma_f64 v[94:95], v[141:142], s[28:29], v[94:95]
	v_add_f64 v[162:163], v[88:89], v[162:163]
	v_add_f64 v[70:71], v[70:71], v[162:163]
	v_mul_f64 v[162:163], v[124:125], s[40:41]
	v_fma_f64 v[166:167], v[151:152], s[34:35], v[162:163]
	v_fma_f64 v[162:163], v[151:152], s[34:35], -v[162:163]
	v_add_f64 v[68:69], v[166:167], v[68:69]
	v_mul_f64 v[166:167], v[110:111], s[40:41]
	v_add_f64 v[92:93], v[162:163], v[92:93]
	v_fma_f64 v[170:171], v[149:150], s[34:35], -v[166:167]
	v_add_f64 v[70:71], v[170:171], v[70:71]
	v_mul_f64 v[170:171], v[131:132], s[46:47]
	v_fma_f64 v[172:173], v[147:148], s[22:23], v[170:171]
	v_fma_f64 v[162:163], v[147:148], s[22:23], -v[170:171]
	v_add_f64 v[68:69], v[172:173], v[68:69]
	v_mul_f64 v[172:173], v[145:146], s[46:47]
	v_add_f64 v[92:93], v[162:163], v[92:93]
	v_fma_f64 v[162:163], v[155:156], s[16:17], v[164:165]
	v_fma_f64 v[164:165], v[96:97], s[36:37], v[190:191]
	v_fma_f64 v[174:175], v[143:144], s[22:23], -v[172:173]
	v_add_f64 v[162:163], v[88:89], v[162:163]
	v_add_f64 v[70:71], v[174:175], v[70:71]
	v_mul_f64 v[174:175], v[122:123], s[44:45]
	v_add_f64 v[94:95], v[94:95], v[162:163]
	v_fma_f64 v[176:177], v[120:121], s[10:11], v[174:175]
	v_fma_f64 v[162:163], v[120:121], s[10:11], -v[174:175]
	v_add_f64 v[68:69], v[176:177], v[68:69]
	v_mul_f64 v[176:177], v[137:138], s[44:45]
	v_add_f64 v[92:93], v[162:163], v[92:93]
	v_fma_f64 v[162:163], v[149:150], s[34:35], v[166:167]
	v_mul_f64 v[166:167], v[159:160], s[24:25]
	v_fma_f64 v[178:179], v[133:134], s[10:11], -v[176:177]
	v_add_f64 v[94:95], v[162:163], v[94:95]
	v_fma_f64 v[162:163], v[143:144], s[22:23], v[172:173]
	v_fma_f64 v[26:27], v[157:158], s[22:23], v[166:167]
	v_fma_f64 v[166:167], v[157:158], s[22:23], -v[166:167]
	v_add_f64 v[70:71], v[178:179], v[70:71]
	v_mul_f64 v[178:179], v[118:119], s[2:3]
	v_add_f64 v[94:95], v[162:163], v[94:95]
	v_add_f64 v[22:23], v[90:91], v[26:27]
	;; [unrolled: 1-line block ×3, first 2 shown]
	v_fma_f64 v[180:181], v[108:109], s[0:1], v[178:179]
	v_fma_f64 v[162:163], v[108:109], s[0:1], -v[178:179]
	v_add_f64 v[20:21], v[20:21], v[22:23]
	v_add_f64 v[24:25], v[24:25], v[166:167]
	;; [unrolled: 1-line block ×3, first 2 shown]
	v_mul_f64 v[180:181], v[139:140], s[2:3]
	v_add_f64 v[92:93], v[162:163], v[92:93]
	v_fma_f64 v[162:163], v[133:134], s[10:11], v[176:177]
	v_fma_f64 v[182:183], v[102:103], s[0:1], -v[180:181]
	v_add_f64 v[94:95], v[162:163], v[94:95]
	v_add_f64 v[70:71], v[182:183], v[70:71]
	v_mul_f64 v[182:183], v[116:117], s[26:27]
	v_fma_f64 v[184:185], v[104:105], s[20:21], v[182:183]
	v_fma_f64 v[162:163], v[104:105], s[20:21], -v[182:183]
	v_add_f64 v[68:69], v[184:185], v[68:69]
	v_mul_f64 v[184:185], v[106:107], s[26:27]
	v_add_f64 v[92:93], v[162:163], v[92:93]
	v_fma_f64 v[162:163], v[102:103], s[0:1], v[180:181]
	v_fma_f64 v[186:187], v[100:101], s[20:21], -v[184:185]
	v_add_f64 v[94:95], v[162:163], v[94:95]
	v_fma_f64 v[162:163], v[100:101], s[20:21], v[184:185]
	v_add_f64 v[186:187], v[186:187], v[70:71]
	v_fma_f64 v[70:71], v[112:113], s[36:37], v[188:189]
	v_add_f64 v[162:163], v[162:163], v[94:95]
	v_fma_f64 v[94:95], v[112:113], s[36:37], -v[188:189]
	v_add_f64 v[70:71], v[70:71], v[68:69]
	v_fma_f64 v[68:69], v[96:97], s[36:37], -v[190:191]
	v_add_f64 v[94:95], v[94:95], v[92:93]
	v_add_f64 v[92:93], v[164:165], v[162:163]
	v_mul_f64 v[162:163], v[153:154], s[24:25]
	v_mul_f64 v[164:165], v[129:130], s[42:43]
	v_add_f64 v[68:69], v[68:69], v[186:187]
	v_fma_f64 v[26:27], v[155:156], s[22:23], -v[162:163]
	v_fma_f64 v[162:163], v[155:156], s[22:23], v[162:163]
	v_add_f64 v[22:23], v[88:89], v[26:27]
	v_fma_f64 v[26:27], v[141:142], s[36:37], -v[164:165]
	v_fma_f64 v[164:165], v[141:142], s[36:37], v[164:165]
	v_add_f64 v[162:163], v[88:89], v[162:163]
	v_add_f64 v[22:23], v[26:27], v[22:23]
	v_mul_f64 v[26:27], v[124:125], s[44:45]
	v_add_f64 v[162:163], v[164:165], v[162:163]
	v_fma_f64 v[16:17], v[151:152], s[10:11], v[26:27]
	v_fma_f64 v[26:27], v[151:152], s[10:11], -v[26:27]
	v_add_f64 v[16:17], v[16:17], v[20:21]
	v_fma_f64 v[20:21], v[149:150], s[10:11], -v[18:19]
	v_add_f64 v[24:25], v[26:27], v[24:25]
	v_fma_f64 v[18:19], v[149:150], s[10:11], v[18:19]
	v_mul_f64 v[26:27], v[116:117], s[2:3]
	v_add_f64 v[20:21], v[20:21], v[22:23]
	v_mul_f64 v[22:23], v[131:132], s[18:19]
	v_add_f64 v[18:19], v[18:19], v[162:163]
	v_fma_f64 v[168:169], v[147:148], s[16:17], v[22:23]
	v_fma_f64 v[22:23], v[147:148], s[16:17], -v[22:23]
	v_add_f64 v[16:17], v[168:169], v[16:17]
	v_mul_f64 v[168:169], v[145:146], s[18:19]
	v_add_f64 v[22:23], v[22:23], v[24:25]
	v_fma_f64 v[170:171], v[143:144], s[16:17], -v[168:169]
	v_fma_f64 v[24:25], v[143:144], s[16:17], v[168:169]
	v_mul_f64 v[168:169], v[159:160], s[40:41]
	v_add_f64 v[20:21], v[170:171], v[20:21]
	v_mul_f64 v[170:171], v[122:123], s[48:49]
	v_add_f64 v[18:19], v[24:25], v[18:19]
	v_fma_f64 v[172:173], v[120:121], s[34:35], v[170:171]
	v_fma_f64 v[24:25], v[120:121], s[34:35], -v[170:171]
	v_mul_f64 v[170:171], v[153:154], s[52:53]
	v_add_f64 v[16:17], v[172:173], v[16:17]
	v_mul_f64 v[172:173], v[137:138], s[48:49]
	v_add_f64 v[22:23], v[24:25], v[22:23]
	v_fma_f64 v[24:25], v[104:105], s[0:1], v[26:27]
	v_fma_f64 v[26:27], v[104:105], s[0:1], -v[26:27]
	v_fma_f64 v[174:175], v[133:134], s[34:35], -v[172:173]
	v_fma_f64 v[162:163], v[133:134], s[34:35], v[172:173]
	v_mul_f64 v[172:173], v[153:154], s[50:51]
	v_add_f64 v[20:21], v[174:175], v[20:21]
	v_mul_f64 v[174:175], v[118:119], s[50:51]
	v_add_f64 v[18:19], v[162:163], v[18:19]
	v_mul_f64 v[162:163], v[106:107], s[2:3]
	v_fma_f64 v[180:181], v[155:156], s[20:21], v[172:173]
	v_fma_f64 v[172:173], v[155:156], s[20:21], -v[172:173]
	v_fma_f64 v[176:177], v[108:109], s[20:21], v[174:175]
	v_fma_f64 v[164:165], v[108:109], s[20:21], -v[174:175]
	v_add_f64 v[180:181], v[88:89], v[180:181]
	v_add_f64 v[172:173], v[88:89], v[172:173]
	v_add_f64 v[16:17], v[176:177], v[16:17]
	v_mul_f64 v[176:177], v[139:140], s[50:51]
	v_add_f64 v[22:23], v[164:165], v[22:23]
	v_mul_f64 v[164:165], v[114:115], s[30:31]
	v_add_f64 v[16:17], v[24:25], v[16:17]
	v_fma_f64 v[178:179], v[102:103], s[20:21], -v[176:177]
	v_fma_f64 v[166:167], v[102:103], s[20:21], v[176:177]
	v_fma_f64 v[24:25], v[100:101], s[0:1], -v[162:163]
	v_fma_f64 v[162:163], v[100:101], s[0:1], v[162:163]
	v_add_f64 v[22:23], v[26:27], v[22:23]
	v_add_f64 v[20:21], v[178:179], v[20:21]
	v_add_f64 v[18:19], v[166:167], v[18:19]
	v_mul_f64 v[166:167], v[98:99], s[30:31]
	v_fma_f64 v[178:179], v[155:156], s[28:29], -v[170:171]
	v_fma_f64 v[170:171], v[155:156], s[28:29], v[170:171]
	v_add_f64 v[20:21], v[24:25], v[20:21]
	v_fma_f64 v[24:25], v[112:113], s[28:29], v[164:165]
	v_fma_f64 v[26:27], v[96:97], s[28:29], -v[166:167]
	v_add_f64 v[162:163], v[162:163], v[18:19]
	v_fma_f64 v[18:19], v[112:113], s[28:29], -v[164:165]
	v_fma_f64 v[164:165], v[96:97], s[28:29], v[166:167]
	v_mul_f64 v[166:167], v[159:160], s[38:39]
	v_add_f64 v[170:171], v[88:89], v[170:171]
	v_add_f64 v[14:15], v[24:25], v[16:17]
	v_mul_f64 v[24:25], v[159:160], s[52:53]
	v_add_f64 v[12:13], v[26:27], v[20:21]
	v_mul_f64 v[20:21], v[159:160], s[50:51]
	v_mul_f64 v[26:27], v[159:160], s[44:45]
	v_add_f64 v[18:19], v[18:19], v[22:23]
	v_add_f64 v[16:17], v[164:165], v[162:163]
	v_fma_f64 v[8:9], v[157:158], s[36:37], -v[166:167]
	v_fma_f64 v[10:11], v[157:158], s[36:37], v[166:167]
	v_fma_f64 v[22:23], v[157:158], s[34:35], v[168:169]
	v_fma_f64 v[159:160], v[157:158], s[34:35], -v[168:169]
	v_mul_f64 v[168:169], v[153:154], s[40:41]
	v_fma_f64 v[162:163], v[157:158], s[28:29], v[24:25]
	v_fma_f64 v[24:25], v[157:158], s[28:29], -v[24:25]
	v_fma_f64 v[164:165], v[157:158], s[20:21], -v[20:21]
	v_fma_f64 v[20:21], v[157:158], s[20:21], v[20:21]
	v_fma_f64 v[166:167], v[157:158], s[10:11], -v[26:27]
	v_fma_f64 v[26:27], v[157:158], s[10:11], v[26:27]
	v_mul_f64 v[157:158], v[153:154], s[38:39]
	v_mul_f64 v[153:154], v[153:154], s[44:45]
	v_add_f64 v[8:9], v[90:91], v[8:9]
	v_add_f64 v[10:11], v[90:91], v[10:11]
	v_fma_f64 v[176:177], v[155:156], s[34:35], -v[168:169]
	v_fma_f64 v[168:169], v[155:156], s[34:35], v[168:169]
	v_add_f64 v[22:23], v[90:91], v[22:23]
	v_add_f64 v[159:160], v[90:91], v[159:160]
	;; [unrolled: 1-line block ×8, first 2 shown]
	v_fma_f64 v[174:175], v[155:156], s[36:37], -v[157:158]
	v_fma_f64 v[157:158], v[155:156], s[36:37], v[157:158]
	v_fma_f64 v[182:183], v[155:156], s[10:11], v[153:154]
	v_fma_f64 v[153:154], v[155:156], s[10:11], -v[153:154]
	v_mul_f64 v[90:91], v[124:125], s[26:27]
	v_add_f64 v[168:169], v[88:89], v[168:169]
	v_add_f64 v[6:7], v[6:7], v[8:9]
	;; [unrolled: 1-line block ×3, first 2 shown]
	v_mul_f64 v[8:9], v[129:130], s[54:55]
	v_add_f64 v[155:156], v[88:89], v[174:175]
	v_add_f64 v[157:158], v[88:89], v[157:158]
	;; [unrolled: 1-line block ×6, first 2 shown]
	v_fma_f64 v[153:154], v[151:152], s[20:21], -v[90:91]
	v_fma_f64 v[90:91], v[151:152], s[20:21], v[90:91]
	v_fma_f64 v[10:11], v[141:142], s[16:17], -v[8:9]
	v_fma_f64 v[8:9], v[141:142], s[16:17], v[8:9]
	v_add_f64 v[6:7], v[153:154], v[6:7]
	v_add_f64 v[4:5], v[90:91], v[4:5]
	v_mul_f64 v[90:91], v[110:111], s[26:27]
	v_add_f64 v[10:11], v[10:11], v[155:156]
	v_add_f64 v[8:9], v[8:9], v[157:158]
	v_fma_f64 v[153:154], v[149:150], s[20:21], -v[90:91]
	v_fma_f64 v[90:91], v[149:150], s[20:21], v[90:91]
	v_add_f64 v[10:11], v[153:154], v[10:11]
	v_mul_f64 v[153:154], v[131:132], s[52:53]
	v_add_f64 v[8:9], v[90:91], v[8:9]
	v_mul_f64 v[90:91], v[126:127], s[2:3]
	v_fma_f64 v[155:156], v[147:148], s[28:29], -v[153:154]
	v_fma_f64 v[153:154], v[147:148], s[28:29], v[153:154]
	v_add_f64 v[6:7], v[155:156], v[6:7]
	v_add_f64 v[4:5], v[153:154], v[4:5]
	v_mul_f64 v[153:154], v[145:146], s[52:53]
	v_fma_f64 v[155:156], v[143:144], s[28:29], -v[153:154]
	v_fma_f64 v[153:154], v[143:144], s[28:29], v[153:154]
	v_add_f64 v[10:11], v[155:156], v[10:11]
	v_mul_f64 v[155:156], v[122:123], s[2:3]
	v_add_f64 v[8:9], v[153:154], v[8:9]
	v_mul_f64 v[153:154], v[124:125], s[42:43]
	v_fma_f64 v[182:183], v[120:121], s[0:1], -v[155:156]
	v_fma_f64 v[155:156], v[120:121], s[0:1], v[155:156]
	v_add_f64 v[6:7], v[182:183], v[6:7]
	v_add_f64 v[4:5], v[155:156], v[4:5]
	v_mul_f64 v[155:156], v[137:138], s[2:3]
	v_fma_f64 v[182:183], v[133:134], s[0:1], -v[155:156]
	v_fma_f64 v[155:156], v[133:134], s[0:1], v[155:156]
	v_add_f64 v[10:11], v[182:183], v[10:11]
	v_mul_f64 v[182:183], v[118:119], s[48:49]
	v_add_f64 v[8:9], v[155:156], v[8:9]
	v_fma_f64 v[157:158], v[108:109], s[34:35], v[182:183]
	v_fma_f64 v[184:185], v[108:109], s[34:35], -v[182:183]
	v_add_f64 v[4:5], v[157:158], v[4:5]
	v_mul_f64 v[157:158], v[139:140], s[48:49]
	v_add_f64 v[6:7], v[184:185], v[6:7]
	s_mov_b32 s49, 0x3fc7851a
	s_mov_b32 s48, s2
	v_fma_f64 v[182:183], v[102:103], s[34:35], -v[157:158]
	v_fma_f64 v[157:158], v[102:103], s[34:35], v[157:158]
	v_add_f64 v[10:11], v[182:183], v[10:11]
	v_mul_f64 v[182:183], v[116:117], s[44:45]
	v_add_f64 v[8:9], v[157:158], v[8:9]
	v_mul_f64 v[157:158], v[129:130], s[24:25]
	v_fma_f64 v[184:185], v[104:105], s[10:11], -v[182:183]
	v_fma_f64 v[182:183], v[104:105], s[10:11], v[182:183]
	v_add_f64 v[6:7], v[184:185], v[6:7]
	v_fma_f64 v[184:185], v[135:136], s[0:1], v[90:91]
	v_fma_f64 v[90:91], v[135:136], s[0:1], -v[90:91]
	v_add_f64 v[182:183], v[182:183], v[4:5]
	v_mul_f64 v[4:5], v[106:107], s[44:45]
	v_add_f64 v[22:23], v[184:185], v[22:23]
	v_add_f64 v[90:91], v[90:91], v[159:160]
	v_fma_f64 v[159:160], v[151:152], s[36:37], v[153:154]
	v_fma_f64 v[153:154], v[151:152], s[36:37], -v[153:154]
	v_fma_f64 v[184:185], v[100:101], s[10:11], -v[4:5]
	v_fma_f64 v[4:5], v[100:101], s[10:11], v[4:5]
	v_add_f64 v[22:23], v[159:160], v[22:23]
	v_add_f64 v[90:91], v[153:154], v[90:91]
	v_mul_f64 v[153:154], v[131:132], s[8:9]
	v_add_f64 v[10:11], v[184:185], v[10:11]
	v_mul_f64 v[184:185], v[129:130], s[2:3]
	v_mul_f64 v[159:160], v[110:111], s[42:43]
	v_fma_f64 v[155:156], v[147:148], s[10:11], v[153:154]
	v_fma_f64 v[153:154], v[147:148], s[10:11], -v[153:154]
	v_fma_f64 v[186:187], v[141:142], s[0:1], -v[184:185]
	v_add_f64 v[22:23], v[155:156], v[22:23]
	v_fma_f64 v[155:156], v[141:142], s[0:1], v[184:185]
	v_add_f64 v[174:175], v[186:187], v[174:175]
	v_fma_f64 v[186:187], v[149:150], s[36:37], -v[159:160]
	v_fma_f64 v[159:160], v[149:150], s[36:37], v[159:160]
	v_add_f64 v[90:91], v[153:154], v[90:91]
	v_mul_f64 v[153:154], v[122:123], s[52:53]
	v_add_f64 v[155:156], v[155:156], v[168:169]
	v_mul_f64 v[168:169], v[126:127], s[24:25]
	v_add_f64 v[174:175], v[186:187], v[174:175]
	v_add_f64 v[155:156], v[159:160], v[155:156]
	v_fma_f64 v[184:185], v[135:136], s[22:23], v[168:169]
	v_fma_f64 v[168:169], v[135:136], s[22:23], -v[168:169]
	v_mul_f64 v[159:160], v[124:125], s[48:49]
	v_add_f64 v[162:163], v[184:185], v[162:163]
	v_mul_f64 v[184:185], v[145:146], s[8:9]
	v_add_f64 v[24:25], v[168:169], v[24:25]
	v_fma_f64 v[168:169], v[151:152], s[0:1], v[159:160]
	v_fma_f64 v[159:160], v[151:152], s[0:1], -v[159:160]
	v_fma_f64 v[186:187], v[143:144], s[10:11], -v[184:185]
	v_add_f64 v[162:163], v[168:169], v[162:163]
	v_mul_f64 v[168:169], v[137:138], s[52:53]
	v_add_f64 v[24:25], v[159:160], v[24:25]
	v_fma_f64 v[159:160], v[143:144], s[10:11], v[184:185]
	v_add_f64 v[174:175], v[186:187], v[174:175]
	v_fma_f64 v[186:187], v[141:142], s[22:23], -v[157:158]
	v_fma_f64 v[157:158], v[141:142], s[22:23], v[157:158]
	v_add_f64 v[155:156], v[159:160], v[155:156]
	v_mul_f64 v[159:160], v[131:132], s[42:43]
	v_add_f64 v[176:177], v[186:187], v[176:177]
	v_fma_f64 v[186:187], v[120:121], s[28:29], v[153:154]
	v_fma_f64 v[153:154], v[120:121], s[28:29], -v[153:154]
	v_add_f64 v[157:158], v[157:158], v[170:171]
	v_mul_f64 v[170:171], v[145:146], s[42:43]
	v_fma_f64 v[184:185], v[147:148], s[36:37], v[159:160]
	v_add_f64 v[22:23], v[186:187], v[22:23]
	v_fma_f64 v[186:187], v[133:134], s[28:29], -v[168:169]
	v_add_f64 v[90:91], v[153:154], v[90:91]
	v_mul_f64 v[153:154], v[118:119], s[18:19]
	v_add_f64 v[162:163], v[184:185], v[162:163]
	v_mul_f64 v[184:185], v[139:140], s[18:19]
	;; [unrolled: 2-line block ×3, first 2 shown]
	v_fma_f64 v[188:189], v[149:150], s[0:1], -v[186:187]
	v_add_f64 v[176:177], v[188:189], v[176:177]
	v_fma_f64 v[188:189], v[108:109], s[16:17], v[153:154]
	v_fma_f64 v[153:154], v[108:109], s[16:17], -v[153:154]
	v_add_f64 v[22:23], v[188:189], v[22:23]
	v_fma_f64 v[188:189], v[102:103], s[16:17], -v[184:185]
	v_add_f64 v[90:91], v[153:154], v[90:91]
	v_add_f64 v[153:154], v[4:5], v[8:9]
	v_mul_f64 v[4:5], v[116:117], s[46:47]
	v_add_f64 v[174:175], v[188:189], v[174:175]
	v_fma_f64 v[188:189], v[143:144], s[36:37], -v[170:171]
	v_fma_f64 v[8:9], v[104:105], s[22:23], v[4:5]
	v_fma_f64 v[4:5], v[104:105], s[22:23], -v[4:5]
	v_add_f64 v[176:177], v[188:189], v[176:177]
	v_add_f64 v[188:189], v[8:9], v[22:23]
	v_fma_f64 v[8:9], v[147:148], s[36:37], -v[159:160]
	v_fma_f64 v[22:23], v[133:134], s[28:29], v[168:169]
	v_add_f64 v[90:91], v[4:5], v[90:91]
	v_fma_f64 v[168:169], v[149:150], s[0:1], v[186:187]
	v_mul_f64 v[159:160], v[106:107], s[46:47]
	v_add_f64 v[8:9], v[8:9], v[24:25]
	v_mul_f64 v[24:25], v[122:123], s[26:27]
	v_add_f64 v[22:23], v[22:23], v[155:156]
	v_add_f64 v[157:158], v[168:169], v[157:158]
	v_mul_f64 v[168:169], v[137:138], s[26:27]
	v_fma_f64 v[4:5], v[120:121], s[20:21], -v[24:25]
	v_fma_f64 v[155:156], v[120:121], s[20:21], v[24:25]
	v_add_f64 v[4:5], v[4:5], v[8:9]
	v_fma_f64 v[8:9], v[102:103], s[16:17], v[184:185]
	v_add_f64 v[155:156], v[155:156], v[162:163]
	v_fma_f64 v[162:163], v[100:101], s[22:23], -v[159:160]
	v_add_f64 v[8:9], v[8:9], v[22:23]
	v_mul_f64 v[22:23], v[118:119], s[44:45]
	v_add_f64 v[162:163], v[162:163], v[174:175]
	v_fma_f64 v[174:175], v[133:134], s[20:21], -v[168:169]
	v_fma_f64 v[24:25], v[108:109], s[10:11], v[22:23]
	v_fma_f64 v[22:23], v[108:109], s[10:11], -v[22:23]
	v_add_f64 v[174:175], v[174:175], v[176:177]
	v_add_f64 v[24:25], v[24:25], v[155:156]
	v_fma_f64 v[155:156], v[143:144], s[36:37], v[170:171]
	v_add_f64 v[4:5], v[22:23], v[4:5]
	v_fma_f64 v[22:23], v[133:134], s[20:21], v[168:169]
	v_add_f64 v[155:156], v[155:156], v[157:158]
	v_mul_f64 v[157:158], v[139:140], s[44:45]
	v_add_f64 v[22:23], v[22:23], v[155:156]
	v_mul_f64 v[155:156], v[126:127], s[40:41]
	v_mul_f64 v[126:127], v[126:127], s[50:51]
	v_fma_f64 v[170:171], v[102:103], s[10:11], -v[157:158]
	v_fma_f64 v[168:169], v[135:136], s[34:35], -v[155:156]
	v_fma_f64 v[155:156], v[135:136], s[34:35], v[155:156]
	v_add_f64 v[170:171], v[170:171], v[174:175]
	v_add_f64 v[164:165], v[168:169], v[164:165]
	v_fma_f64 v[168:169], v[135:136], s[20:21], -v[126:127]
	v_fma_f64 v[126:127], v[135:136], s[20:21], v[126:127]
	v_mul_f64 v[135:136], v[129:130], s[40:41]
	v_add_f64 v[20:21], v[155:156], v[20:21]
	v_mul_f64 v[155:156], v[124:125], s[24:25]
	v_mul_f64 v[124:125], v[124:125], s[52:53]
	;; [unrolled: 1-line block ×3, first 2 shown]
	v_add_f64 v[26:27], v[126:127], v[26:27]
	v_fma_f64 v[174:175], v[141:142], s[34:35], v[135:136]
	v_fma_f64 v[135:136], v[141:142], s[34:35], -v[135:136]
	v_mul_f64 v[126:127], v[110:111], s[24:25]
	v_mul_f64 v[110:111], v[110:111], s[52:53]
	v_fma_f64 v[176:177], v[141:142], s[20:21], v[129:130]
	v_fma_f64 v[129:130], v[141:142], s[20:21], -v[129:130]
	v_add_f64 v[141:142], v[168:169], v[166:167]
	v_add_f64 v[168:169], v[174:175], v[180:181]
	v_add_f64 v[135:136], v[135:136], v[172:173]
	v_fma_f64 v[172:173], v[151:152], s[22:23], -v[155:156]
	v_fma_f64 v[155:156], v[151:152], s[22:23], v[155:156]
	v_fma_f64 v[174:175], v[149:150], s[28:29], v[110:111]
	v_fma_f64 v[110:111], v[149:150], s[28:29], -v[110:111]
	v_add_f64 v[88:89], v[129:130], v[88:89]
	v_add_f64 v[166:167], v[176:177], v[178:179]
	;; [unrolled: 1-line block ×3, first 2 shown]
	v_fma_f64 v[172:173], v[151:152], s[28:29], -v[124:125]
	v_fma_f64 v[124:125], v[151:152], s[28:29], v[124:125]
	v_fma_f64 v[151:152], v[149:150], s[22:23], v[126:127]
	v_fma_f64 v[126:127], v[149:150], s[22:23], -v[126:127]
	v_add_f64 v[20:21], v[155:156], v[20:21]
	v_add_f64 v[88:89], v[110:111], v[88:89]
	;; [unrolled: 1-line block ×4, first 2 shown]
	v_mul_f64 v[124:125], v[145:146], s[2:3]
	v_add_f64 v[126:127], v[126:127], v[135:136]
	v_mul_f64 v[135:136], v[131:132], s[2:3]
	v_mul_f64 v[131:132], v[131:132], s[40:41]
	v_add_f64 v[149:150], v[151:152], v[168:169]
	v_mul_f64 v[145:146], v[145:146], s[40:41]
	v_add_f64 v[141:142], v[174:175], v[166:167]
	v_fma_f64 v[151:152], v[147:148], s[0:1], -v[135:136]
	v_fma_f64 v[155:156], v[147:148], s[34:35], -v[131:132]
	v_fma_f64 v[135:136], v[147:148], s[0:1], v[135:136]
	v_fma_f64 v[131:132], v[147:148], s[34:35], v[131:132]
	;; [unrolled: 1-line block ×3, first 2 shown]
	v_fma_f64 v[124:125], v[143:144], s[0:1], -v[124:125]
	v_add_f64 v[151:152], v[151:152], v[164:165]
	v_add_f64 v[110:111], v[155:156], v[129:130]
	v_mul_f64 v[129:130], v[122:123], s[54:55]
	v_mul_f64 v[122:123], v[122:123], s[38:39]
	v_fma_f64 v[164:165], v[143:144], s[34:35], v[145:146]
	v_fma_f64 v[143:144], v[143:144], s[34:35], -v[145:146]
	v_add_f64 v[147:148], v[147:148], v[149:150]
	v_mul_f64 v[149:150], v[137:138], s[38:39]
	v_mul_f64 v[137:138], v[137:138], s[54:55]
	v_add_f64 v[20:21], v[135:136], v[20:21]
	v_mul_f64 v[135:136], v[118:119], s[42:43]
	v_add_f64 v[124:125], v[124:125], v[126:127]
	v_add_f64 v[26:27], v[131:132], v[26:27]
	v_mul_f64 v[118:119], v[118:119], s[24:25]
	v_mul_f64 v[155:156], v[106:107], s[18:19]
	v_fma_f64 v[145:146], v[120:121], s[16:17], -v[129:130]
	v_fma_f64 v[126:127], v[120:121], s[36:37], -v[122:123]
	v_add_f64 v[141:142], v[164:165], v[141:142]
	v_fma_f64 v[129:130], v[120:121], s[16:17], v[129:130]
	v_fma_f64 v[120:121], v[120:121], s[36:37], v[122:123]
	;; [unrolled: 1-line block ×4, first 2 shown]
	v_fma_f64 v[137:138], v[133:134], s[16:17], -v[137:138]
	v_fma_f64 v[133:134], v[133:134], s[36:37], -v[149:150]
	;; [unrolled: 1-line block ×3, first 2 shown]
	v_add_f64 v[88:89], v[143:144], v[88:89]
	v_mul_f64 v[143:144], v[116:117], s[40:41]
	v_fma_f64 v[135:136], v[108:109], s[36:37], v[135:136]
	v_add_f64 v[145:146], v[145:146], v[151:152]
	v_mul_f64 v[151:152], v[139:140], s[24:25]
	v_mul_f64 v[139:140], v[139:140], s[42:43]
	v_add_f64 v[110:111], v[126:127], v[110:111]
	v_mul_f64 v[126:127], v[116:117], s[30:31]
	v_add_f64 v[122:123], v[122:123], v[141:142]
	v_add_f64 v[131:132], v[131:132], v[147:148]
	v_fma_f64 v[141:142], v[108:109], s[22:23], -v[118:119]
	v_add_f64 v[20:21], v[129:130], v[20:21]
	v_add_f64 v[124:125], v[137:138], v[124:125]
	v_mul_f64 v[116:117], v[116:117], s[18:19]
	v_add_f64 v[26:27], v[120:121], v[26:27]
	v_fma_f64 v[108:109], v[108:109], s[22:23], v[118:119]
	v_mul_f64 v[118:119], v[106:107], s[30:31]
	v_mul_f64 v[106:107], v[106:107], s[40:41]
	v_fma_f64 v[137:138], v[102:103], s[10:11], v[157:158]
	v_add_f64 v[88:89], v[133:134], v[88:89]
	v_mul_f64 v[133:134], v[114:115], s[24:25]
	v_mul_f64 v[157:158], v[98:99], s[18:19]
	v_add_f64 v[145:146], v[149:150], v[145:146]
	v_fma_f64 v[147:148], v[102:103], s[22:23], v[151:152]
	v_fma_f64 v[129:130], v[102:103], s[36:37], v[139:140]
	v_fma_f64 v[149:150], v[104:105], s[34:35], -v[143:144]
	v_fma_f64 v[120:121], v[102:103], s[36:37], -v[139:140]
	;; [unrolled: 1-line block ×4, first 2 shown]
	v_add_f64 v[110:111], v[141:142], v[110:111]
	v_fma_f64 v[143:144], v[104:105], s[34:35], v[143:144]
	v_fma_f64 v[126:127], v[104:105], s[28:29], v[126:127]
	v_mul_f64 v[151:152], v[98:99], s[2:3]
	v_add_f64 v[20:21], v[135:136], v[20:21]
	v_add_f64 v[26:27], v[108:109], v[26:27]
	v_fma_f64 v[135:136], v[100:101], s[28:29], v[118:119]
	v_mul_f64 v[108:109], v[98:99], s[8:9]
	v_add_f64 v[22:23], v[137:138], v[22:23]
	v_mul_f64 v[137:138], v[98:99], s[26:27]
	v_fma_f64 v[141:142], v[100:101], s[22:23], v[159:160]
	v_fma_f64 v[118:119], v[100:101], s[28:29], -v[118:119]
	v_mul_f64 v[98:99], v[98:99], s[24:25]
	v_add_f64 v[122:123], v[147:148], v[122:123]
	v_add_f64 v[129:130], v[129:130], v[131:132]
	v_mul_f64 v[131:132], v[114:115], s[26:27]
	v_add_f64 v[147:148], v[149:150], v[4:5]
	v_fma_f64 v[4:5], v[104:105], s[16:17], -v[116:117]
	v_fma_f64 v[149:150], v[100:101], s[16:17], v[155:156]
	v_add_f64 v[120:121], v[120:121], v[124:125]
	v_add_f64 v[124:125], v[139:140], v[145:146]
	v_fma_f64 v[104:105], v[104:105], s[16:17], v[116:117]
	v_mul_f64 v[116:117], v[114:115], s[18:19]
	v_mul_f64 v[145:146], v[114:115], s[8:9]
	;; [unrolled: 1-line block ×3, first 2 shown]
	v_fma_f64 v[139:140], v[100:101], s[34:35], v[106:107]
	v_fma_f64 v[106:107], v[100:101], s[34:35], -v[106:107]
	v_fma_f64 v[100:101], v[100:101], s[16:17], -v[155:156]
	v_add_f64 v[88:89], v[102:103], v[88:89]
	v_fma_f64 v[159:160], v[96:97], s[0:1], v[151:152]
	v_add_f64 v[143:144], v[143:144], v[24:25]
	v_add_f64 v[126:127], v[126:127], v[20:21]
	v_fma_f64 v[20:21], v[96:97], s[16:17], v[157:158]
	v_add_f64 v[141:142], v[141:142], v[8:9]
	v_fma_f64 v[164:165], v[96:97], s[22:23], -v[98:99]
	v_fma_f64 v[168:169], v[96:97], s[10:11], -v[108:109]
	v_add_f64 v[129:130], v[135:136], v[129:130]
	v_fma_f64 v[151:152], v[96:97], s[0:1], -v[151:152]
	v_add_f64 v[102:103], v[4:5], v[110:111]
	v_add_f64 v[110:111], v[149:150], v[122:123]
	v_fma_f64 v[4:5], v[112:113], s[22:23], -v[133:134]
	v_fma_f64 v[122:123], v[112:113], s[22:23], v[133:134]
	v_fma_f64 v[133:134], v[112:113], s[20:21], v[131:132]
	v_fma_f64 v[131:132], v[112:113], s[20:21], -v[131:132]
	v_fma_f64 v[24:25], v[112:113], s[10:11], -v[145:146]
	;; [unrolled: 1-line block ×3, first 2 shown]
	v_add_f64 v[135:136], v[139:140], v[22:23]
	v_add_f64 v[155:156], v[106:107], v[170:171]
	v_fma_f64 v[106:107], v[96:97], s[10:11], v[108:109]
	v_fma_f64 v[22:23], v[112:113], s[16:17], -v[116:117]
	v_fma_f64 v[139:140], v[96:97], s[20:21], v[137:138]
	v_add_f64 v[118:119], v[118:119], v[120:121]
	v_fma_f64 v[120:121], v[96:97], s[22:23], v[98:99]
	v_fma_f64 v[137:138], v[96:97], s[20:21], -v[137:138]
	v_fma_f64 v[116:117], v[112:113], s[16:17], v[116:117]
	v_fma_f64 v[145:146], v[112:113], s[10:11], v[145:146]
	;; [unrolled: 1-line block ×3, first 2 shown]
	v_fma_f64 v[112:113], v[96:97], s[16:17], -v[157:158]
	v_add_f64 v[157:158], v[104:105], v[26:27]
	v_add_f64 v[170:171], v[100:101], v[88:89]
	;; [unrolled: 1-line block ×15, first 2 shown]
	v_mov_b32_e32 v0, 4
	v_add_f64 v[2:3], v[120:121], v[153:154]
	v_add_f64 v[106:107], v[133:134], v[188:189]
	;; [unrolled: 1-line block ×9, first 2 shown]
	v_lshlrev_b32_sdwa v0, v0, v219 dst_sel:DWORD dst_unused:UNUSED_PAD src0_sel:DWORD src1_sel:WORD_0
	ds_write_b128 v0, v[96:99]
	ds_write_b128 v0, v[88:91] offset:16
	ds_write_b128 v0, v[24:27] offset:32
	;; [unrolled: 1-line block ×16, first 2 shown]
.LBB0_13:
	s_or_b32 exec_lo, exec_lo, s33
	s_waitcnt lgkmcnt(0)
	s_barrier
	buffer_gl0_inv
	ds_read_b128 v[0:3], v255 offset:1904
	ds_read_b128 v[4:7], v255 offset:3808
	;; [unrolled: 1-line block ×6, first 2 shown]
	s_mov_b32 s2, 0x37e14327
	s_mov_b32 s16, 0xe976ee23
	;; [unrolled: 1-line block ×14, first 2 shown]
	s_waitcnt lgkmcnt(5)
	v_mul_f64 v[24:25], v[38:39], v[2:3]
	v_mul_f64 v[26:27], v[38:39], v[0:1]
	s_waitcnt lgkmcnt(4)
	v_mul_f64 v[28:29], v[34:35], v[6:7]
	v_mul_f64 v[30:31], v[34:35], v[4:5]
	;; [unrolled: 3-line block ×6, first 2 shown]
	s_mov_b32 s21, 0xbfe77f67
	s_mov_b32 s25, 0x3fd5d0dc
	;; [unrolled: 1-line block ×6, first 2 shown]
	v_fma_f64 v[0:1], v[36:37], v[0:1], v[24:25]
	v_fma_f64 v[2:3], v[36:37], v[2:3], -v[26:27]
	v_fma_f64 v[4:5], v[32:33], v[4:5], v[28:29]
	v_fma_f64 v[6:7], v[32:33], v[6:7], -v[30:31]
	;; [unrolled: 2-line block ×6, first 2 shown]
	v_add_f64 v[24:25], v[0:1], v[8:9]
	v_add_f64 v[26:27], v[2:3], v[10:11]
	;; [unrolled: 1-line block ×4, first 2 shown]
	v_add_f64 v[4:5], v[4:5], -v[12:13]
	v_add_f64 v[6:7], v[6:7], -v[14:15]
	v_add_f64 v[12:13], v[16:17], v[20:21]
	v_add_f64 v[14:15], v[18:19], v[22:23]
	v_add_f64 v[16:17], v[20:21], -v[16:17]
	v_add_f64 v[18:19], v[22:23], -v[18:19]
	;; [unrolled: 1-line block ×4, first 2 shown]
	ds_read_b128 v[0:3], v255
	s_waitcnt lgkmcnt(0)
	s_barrier
	buffer_gl0_inv
	v_add_f64 v[20:21], v[28:29], v[24:25]
	v_add_f64 v[22:23], v[30:31], v[26:27]
	v_add_f64 v[32:33], v[24:25], -v[12:13]
	v_add_f64 v[34:35], v[26:27], -v[14:15]
	v_add_f64 v[36:37], v[16:17], -v[4:5]
	v_add_f64 v[38:39], v[18:19], -v[6:7]
	v_add_f64 v[40:41], v[4:5], -v[8:9]
	v_add_f64 v[42:43], v[6:7], -v[10:11]
	v_add_f64 v[4:5], v[16:17], v[4:5]
	v_add_f64 v[6:7], v[18:19], v[6:7]
	v_add_f64 v[16:17], v[8:9], -v[16:17]
	v_add_f64 v[18:19], v[10:11], -v[18:19]
	;; [unrolled: 1-line block ×4, first 2 shown]
	v_add_f64 v[20:21], v[12:13], v[20:21]
	v_add_f64 v[22:23], v[14:15], v[22:23]
	v_add_f64 v[12:13], v[12:13], -v[28:29]
	v_add_f64 v[14:15], v[14:15], -v[30:31]
	v_mul_f64 v[32:33], v[32:33], s[2:3]
	v_mul_f64 v[34:35], v[34:35], s[2:3]
	;; [unrolled: 1-line block ×6, first 2 shown]
	v_add_f64 v[4:5], v[4:5], v[8:9]
	v_add_f64 v[6:7], v[6:7], v[10:11]
	;; [unrolled: 1-line block ×4, first 2 shown]
	v_mul_f64 v[28:29], v[12:13], s[0:1]
	v_mul_f64 v[30:31], v[14:15], s[0:1]
	v_fma_f64 v[8:9], v[12:13], s[0:1], v[32:33]
	v_fma_f64 v[10:11], v[14:15], s[0:1], v[34:35]
	;; [unrolled: 1-line block ×4, first 2 shown]
	v_fma_f64 v[16:17], v[16:17], s[24:25], -v[44:45]
	v_fma_f64 v[18:19], v[18:19], s[24:25], -v[46:47]
	;; [unrolled: 1-line block ×6, first 2 shown]
	v_fma_f64 v[20:21], v[20:21], s[10:11], v[0:1]
	v_fma_f64 v[22:23], v[22:23], s[10:11], v[2:3]
	v_fma_f64 v[24:25], v[24:25], s[18:19], -v[28:29]
	v_fma_f64 v[26:27], v[26:27], s[18:19], -v[30:31]
	v_fma_f64 v[28:29], v[4:5], s[26:27], v[12:13]
	v_fma_f64 v[30:31], v[6:7], s[26:27], v[14:15]
	;; [unrolled: 1-line block ×6, first 2 shown]
	v_add_f64 v[44:45], v[8:9], v[20:21]
	v_add_f64 v[46:47], v[10:11], v[22:23]
	;; [unrolled: 1-line block ×7, first 2 shown]
	v_add_f64 v[6:7], v[46:47], -v[28:29]
	v_add_f64 v[8:9], v[42:43], v[32:33]
	v_add_f64 v[10:11], v[34:35], -v[40:41]
	v_add_f64 v[12:13], v[16:17], -v[38:39]
	v_add_f64 v[14:15], v[36:37], v[18:19]
	v_add_f64 v[16:17], v[38:39], v[16:17]
	v_add_f64 v[18:19], v[18:19], -v[36:37]
	v_add_f64 v[20:21], v[32:33], -v[42:43]
	v_add_f64 v[22:23], v[40:41], v[34:35]
	v_add_f64 v[24:25], v[44:45], -v[30:31]
	v_add_f64 v[26:27], v[28:29], v[46:47]
	ds_write_b128 v161, v[0:3]
	ds_write_b128 v161, v[4:7] offset:272
	ds_write_b128 v161, v[8:11] offset:544
	;; [unrolled: 1-line block ×6, first 2 shown]
	s_waitcnt lgkmcnt(0)
	s_barrier
	buffer_gl0_inv
	ds_read_b128 v[0:3], v255 offset:1904
	ds_read_b128 v[4:7], v255 offset:3808
	;; [unrolled: 1-line block ×6, first 2 shown]
	s_waitcnt lgkmcnt(5)
	v_mul_f64 v[24:25], v[66:67], v[2:3]
	v_mul_f64 v[26:27], v[66:67], v[0:1]
	s_waitcnt lgkmcnt(4)
	v_mul_f64 v[28:29], v[62:63], v[6:7]
	v_mul_f64 v[30:31], v[62:63], v[4:5]
	;; [unrolled: 3-line block ×6, first 2 shown]
	v_fma_f64 v[0:1], v[64:65], v[0:1], v[24:25]
	v_fma_f64 v[2:3], v[64:65], v[2:3], -v[26:27]
	v_fma_f64 v[4:5], v[60:61], v[4:5], v[28:29]
	v_fma_f64 v[6:7], v[60:61], v[6:7], -v[30:31]
	;; [unrolled: 2-line block ×6, first 2 shown]
	v_add_f64 v[24:25], v[0:1], v[8:9]
	v_add_f64 v[26:27], v[2:3], v[10:11]
	;; [unrolled: 1-line block ×4, first 2 shown]
	v_add_f64 v[4:5], v[4:5], -v[12:13]
	v_add_f64 v[6:7], v[6:7], -v[14:15]
	v_add_f64 v[12:13], v[16:17], v[20:21]
	v_add_f64 v[14:15], v[18:19], v[22:23]
	v_add_f64 v[16:17], v[20:21], -v[16:17]
	v_add_f64 v[18:19], v[22:23], -v[18:19]
	;; [unrolled: 1-line block ×4, first 2 shown]
	v_add_f64 v[0:1], v[28:29], v[24:25]
	v_add_f64 v[2:3], v[30:31], v[26:27]
	v_add_f64 v[20:21], v[24:25], -v[12:13]
	v_add_f64 v[22:23], v[26:27], -v[14:15]
	;; [unrolled: 1-line block ×6, first 2 shown]
	v_add_f64 v[4:5], v[16:17], v[4:5]
	v_add_f64 v[6:7], v[18:19], v[6:7]
	v_add_f64 v[16:17], v[8:9], -v[16:17]
	v_add_f64 v[18:19], v[10:11], -v[18:19]
	v_add_f64 v[24:25], v[28:29], -v[24:25]
	v_add_f64 v[26:27], v[30:31], -v[26:27]
	v_add_f64 v[40:41], v[12:13], v[0:1]
	v_add_f64 v[42:43], v[14:15], v[2:3]
	ds_read_b128 v[0:3], v255
	v_add_f64 v[12:13], v[12:13], -v[28:29]
	v_add_f64 v[14:15], v[14:15], -v[30:31]
	v_mul_f64 v[20:21], v[20:21], s[2:3]
	v_mul_f64 v[22:23], v[22:23], s[2:3]
	;; [unrolled: 1-line block ×6, first 2 shown]
	v_add_f64 v[4:5], v[4:5], v[8:9]
	v_add_f64 v[6:7], v[6:7], v[10:11]
	s_waitcnt lgkmcnt(0)
	v_add_f64 v[0:1], v[0:1], v[40:41]
	v_add_f64 v[2:3], v[2:3], v[42:43]
	v_mul_f64 v[28:29], v[12:13], s[0:1]
	v_mul_f64 v[30:31], v[14:15], s[0:1]
	v_fma_f64 v[8:9], v[12:13], s[0:1], v[20:21]
	v_fma_f64 v[10:11], v[14:15], s[0:1], v[22:23]
	;; [unrolled: 1-line block ×4, first 2 shown]
	v_fma_f64 v[32:33], v[36:37], s[8:9], -v[32:33]
	v_fma_f64 v[34:35], v[38:39], s[8:9], -v[34:35]
	;; [unrolled: 1-line block ×6, first 2 shown]
	v_fma_f64 v[36:37], v[40:41], s[10:11], v[0:1]
	v_fma_f64 v[38:39], v[42:43], s[10:11], v[2:3]
	v_fma_f64 v[24:25], v[24:25], s[18:19], -v[28:29]
	v_fma_f64 v[26:27], v[26:27], s[18:19], -v[30:31]
	v_fma_f64 v[28:29], v[4:5], s[26:27], v[12:13]
	v_fma_f64 v[30:31], v[6:7], s[26:27], v[14:15]
	v_fma_f64 v[32:33], v[4:5], s[26:27], v[32:33]
	v_fma_f64 v[34:35], v[6:7], s[26:27], v[34:35]
	v_fma_f64 v[40:41], v[4:5], s[26:27], v[16:17]
	v_fma_f64 v[42:43], v[6:7], s[26:27], v[18:19]
	v_add_f64 v[44:45], v[8:9], v[36:37]
	v_add_f64 v[46:47], v[10:11], v[38:39]
	;; [unrolled: 1-line block ×7, first 2 shown]
	v_add_f64 v[6:7], v[46:47], -v[28:29]
	v_add_f64 v[8:9], v[42:43], v[20:21]
	v_add_f64 v[10:11], v[22:23], -v[40:41]
	v_add_f64 v[12:13], v[16:17], -v[34:35]
	v_add_f64 v[14:15], v[32:33], v[18:19]
	v_add_f64 v[16:17], v[34:35], v[16:17]
	v_add_f64 v[18:19], v[18:19], -v[32:33]
	v_add_f64 v[20:21], v[20:21], -v[42:43]
	v_add_f64 v[22:23], v[40:41], v[22:23]
	v_add_f64 v[24:25], v[44:45], -v[30:31]
	v_add_f64 v[26:27], v[28:29], v[46:47]
	ds_write_b128 v255, v[0:3]
	ds_write_b128 v255, v[4:7] offset:1904
	ds_write_b128 v255, v[8:11] offset:3808
	;; [unrolled: 1-line block ×6, first 2 shown]
	s_waitcnt lgkmcnt(0)
	s_barrier
	buffer_gl0_inv
	s_and_b32 exec_lo, exec_lo, vcc_lo
	s_cbranch_execz .LBB0_15
; %bb.14:
	global_load_dwordx4 v[0:3], v255, s[12:13]
	ds_read_b128 v[4:7], v255
	ds_read_b128 v[8:11], v255 offset:784
	ds_read_b128 v[12:15], v255 offset:12544
	s_clause 0x1
	buffer_load_dword v18, off, s[56:59], 0
	buffer_load_dword v19, off, s[56:59], 0 offset:4
	s_mov_b32 s0, 0xca869b81
	s_mov_b32 s1, 0x3f53ab2d
	s_mul_i32 s2, s5, 0x310
	s_mul_hi_u32 s3, s4, 0x310
	s_add_i32 s3, s3, s2
	v_add_co_u32 v22, s2, s12, v255
	v_add_co_ci_u32_e64 v23, null, s13, 0, s2
	s_waitcnt vmcnt(2) lgkmcnt(2)
	v_mul_f64 v[16:17], v[6:7], v[2:3]
	v_mul_f64 v[2:3], v[4:5], v[2:3]
	s_waitcnt vmcnt(1)
	v_mov_b32_e32 v20, v18
	s_waitcnt vmcnt(0)
	v_mad_u64_u32 v[18:19], null, s6, v20, 0
	v_fma_f64 v[4:5], v[4:5], v[0:1], v[16:17]
	v_fma_f64 v[2:3], v[0:1], v[6:7], -v[2:3]
	v_mad_u64_u32 v[6:7], null, s4, v128, 0
	v_mov_b32_e32 v0, v19
	s_mulk_i32 s4, 0x310
	v_mov_b32_e32 v1, v7
	v_mad_u64_u32 v[16:17], null, s7, v20, v[0:1]
	v_mov_b32_e32 v19, v16
	v_mad_u64_u32 v[20:21], null, s5, v128, v[1:2]
	v_mul_f64 v[0:1], v[4:5], s[0:1]
	v_mul_f64 v[2:3], v[2:3], s[0:1]
	v_lshlrev_b64 v[4:5], 4, v[18:19]
	v_mov_b32_e32 v7, v20
	v_add_co_u32 v4, vcc_lo, s14, v4
	v_add_co_ci_u32_e32 v5, vcc_lo, s15, v5, vcc_lo
	v_lshlrev_b64 v[6:7], 4, v[6:7]
	v_add_co_u32 v4, vcc_lo, v4, v6
	v_add_co_ci_u32_e32 v5, vcc_lo, v5, v7, vcc_lo
	v_add_co_u32 v16, vcc_lo, v4, s4
	global_store_dwordx4 v[4:5], v[0:3], off
	global_load_dwordx4 v[0:3], v255, s[12:13] offset:784
	v_add_co_ci_u32_e32 v17, vcc_lo, s3, v5, vcc_lo
	s_waitcnt vmcnt(0) lgkmcnt(1)
	v_mul_f64 v[6:7], v[10:11], v[2:3]
	v_mul_f64 v[2:3], v[8:9], v[2:3]
	v_fma_f64 v[6:7], v[8:9], v[0:1], v[6:7]
	v_fma_f64 v[2:3], v[0:1], v[10:11], -v[2:3]
	v_mul_f64 v[0:1], v[6:7], s[0:1]
	v_mul_f64 v[2:3], v[2:3], s[0:1]
	global_store_dwordx4 v[16:17], v[0:3], off
	global_load_dwordx4 v[0:3], v255, s[12:13] offset:1568
	ds_read_b128 v[4:7], v255 offset:1568
	ds_read_b128 v[8:11], v255 offset:2352
	s_waitcnt vmcnt(0) lgkmcnt(1)
	v_mul_f64 v[18:19], v[6:7], v[2:3]
	v_mul_f64 v[2:3], v[4:5], v[2:3]
	v_fma_f64 v[4:5], v[4:5], v[0:1], v[18:19]
	v_fma_f64 v[2:3], v[0:1], v[6:7], -v[2:3]
	v_mul_f64 v[0:1], v[4:5], s[0:1]
	v_mul_f64 v[2:3], v[2:3], s[0:1]
	v_add_co_u32 v4, vcc_lo, v16, s4
	v_add_co_ci_u32_e32 v5, vcc_lo, s3, v17, vcc_lo
	v_add_co_u32 v16, vcc_lo, 0x800, v22
	v_add_co_ci_u32_e32 v17, vcc_lo, 0, v23, vcc_lo
	;; [unrolled: 2-line block ×3, first 2 shown]
	global_store_dwordx4 v[4:5], v[0:3], off
	global_load_dwordx4 v[0:3], v[16:17], off offset:304
	s_waitcnt vmcnt(0) lgkmcnt(0)
	v_mul_f64 v[6:7], v[10:11], v[2:3]
	v_mul_f64 v[2:3], v[8:9], v[2:3]
	v_fma_f64 v[6:7], v[8:9], v[0:1], v[6:7]
	v_fma_f64 v[2:3], v[0:1], v[10:11], -v[2:3]
	v_mul_f64 v[0:1], v[6:7], s[0:1]
	v_mul_f64 v[2:3], v[2:3], s[0:1]
	global_store_dwordx4 v[18:19], v[0:3], off
	global_load_dwordx4 v[0:3], v[16:17], off offset:1088
	ds_read_b128 v[4:7], v255 offset:3136
	ds_read_b128 v[8:11], v255 offset:3920
	s_waitcnt vmcnt(0) lgkmcnt(1)
	v_mul_f64 v[20:21], v[6:7], v[2:3]
	v_mul_f64 v[2:3], v[4:5], v[2:3]
	v_fma_f64 v[4:5], v[4:5], v[0:1], v[20:21]
	v_fma_f64 v[2:3], v[0:1], v[6:7], -v[2:3]
	v_mul_f64 v[0:1], v[4:5], s[0:1]
	v_mul_f64 v[2:3], v[2:3], s[0:1]
	v_add_co_u32 v4, vcc_lo, v18, s4
	v_add_co_ci_u32_e32 v5, vcc_lo, s3, v19, vcc_lo
	global_store_dwordx4 v[4:5], v[0:3], off
	global_load_dwordx4 v[0:3], v[16:17], off offset:1872
	v_add_co_u32 v16, vcc_lo, v4, s4
	v_add_co_ci_u32_e32 v17, vcc_lo, s3, v5, vcc_lo
	v_add_co_u32 v18, vcc_lo, 0x1000, v22
	v_add_co_ci_u32_e32 v19, vcc_lo, 0, v23, vcc_lo
	s_waitcnt vmcnt(0) lgkmcnt(0)
	v_mul_f64 v[6:7], v[10:11], v[2:3]
	v_mul_f64 v[2:3], v[8:9], v[2:3]
	v_fma_f64 v[6:7], v[8:9], v[0:1], v[6:7]
	v_fma_f64 v[2:3], v[0:1], v[10:11], -v[2:3]
	v_mul_f64 v[0:1], v[6:7], s[0:1]
	v_mul_f64 v[2:3], v[2:3], s[0:1]
	global_store_dwordx4 v[16:17], v[0:3], off
	global_load_dwordx4 v[0:3], v[18:19], off offset:608
	ds_read_b128 v[4:7], v255 offset:4704
	ds_read_b128 v[8:11], v255 offset:5488
	s_waitcnt vmcnt(0) lgkmcnt(1)
	v_mul_f64 v[20:21], v[6:7], v[2:3]
	v_mul_f64 v[2:3], v[4:5], v[2:3]
	v_fma_f64 v[4:5], v[4:5], v[0:1], v[20:21]
	v_fma_f64 v[2:3], v[0:1], v[6:7], -v[2:3]
	v_mul_f64 v[0:1], v[4:5], s[0:1]
	v_mul_f64 v[2:3], v[2:3], s[0:1]
	v_add_co_u32 v4, vcc_lo, v16, s4
	v_add_co_ci_u32_e32 v5, vcc_lo, s3, v17, vcc_lo
	v_add_co_u32 v16, vcc_lo, v4, s4
	v_add_co_ci_u32_e32 v17, vcc_lo, s3, v5, vcc_lo
	global_store_dwordx4 v[4:5], v[0:3], off
	global_load_dwordx4 v[0:3], v[18:19], off offset:1392
	v_add_co_u32 v18, vcc_lo, 0x1800, v22
	v_add_co_ci_u32_e32 v19, vcc_lo, 0, v23, vcc_lo
	s_waitcnt vmcnt(0) lgkmcnt(0)
	v_mul_f64 v[6:7], v[10:11], v[2:3]
	v_mul_f64 v[2:3], v[8:9], v[2:3]
	v_fma_f64 v[6:7], v[8:9], v[0:1], v[6:7]
	v_fma_f64 v[2:3], v[0:1], v[10:11], -v[2:3]
	v_mul_f64 v[0:1], v[6:7], s[0:1]
	v_mul_f64 v[2:3], v[2:3], s[0:1]
	global_store_dwordx4 v[16:17], v[0:3], off
	global_load_dwordx4 v[0:3], v[18:19], off offset:128
	ds_read_b128 v[4:7], v255 offset:6272
	ds_read_b128 v[8:11], v255 offset:7056
	s_waitcnt vmcnt(0) lgkmcnt(1)
	v_mul_f64 v[20:21], v[6:7], v[2:3]
	v_mul_f64 v[2:3], v[4:5], v[2:3]
	v_fma_f64 v[4:5], v[4:5], v[0:1], v[20:21]
	v_fma_f64 v[2:3], v[0:1], v[6:7], -v[2:3]
	v_mul_f64 v[0:1], v[4:5], s[0:1]
	v_mul_f64 v[2:3], v[2:3], s[0:1]
	v_add_co_u32 v4, vcc_lo, v16, s4
	v_add_co_ci_u32_e32 v5, vcc_lo, s3, v17, vcc_lo
	v_add_co_u32 v16, vcc_lo, v4, s4
	v_add_co_ci_u32_e32 v17, vcc_lo, s3, v5, vcc_lo
	global_store_dwordx4 v[4:5], v[0:3], off
	global_load_dwordx4 v[0:3], v[18:19], off offset:912
	s_waitcnt vmcnt(0) lgkmcnt(0)
	v_mul_f64 v[6:7], v[10:11], v[2:3]
	v_mul_f64 v[2:3], v[8:9], v[2:3]
	v_fma_f64 v[6:7], v[8:9], v[0:1], v[6:7]
	v_fma_f64 v[2:3], v[0:1], v[10:11], -v[2:3]
	v_mul_f64 v[0:1], v[6:7], s[0:1]
	v_mul_f64 v[2:3], v[2:3], s[0:1]
	global_store_dwordx4 v[16:17], v[0:3], off
	global_load_dwordx4 v[0:3], v[18:19], off offset:1696
	ds_read_b128 v[4:7], v255 offset:7840
	ds_read_b128 v[8:11], v255 offset:8624
	s_waitcnt vmcnt(0) lgkmcnt(1)
	v_mul_f64 v[18:19], v[6:7], v[2:3]
	v_mul_f64 v[2:3], v[4:5], v[2:3]
	v_fma_f64 v[4:5], v[4:5], v[0:1], v[18:19]
	v_fma_f64 v[2:3], v[0:1], v[6:7], -v[2:3]
	v_mul_f64 v[0:1], v[4:5], s[0:1]
	v_mul_f64 v[2:3], v[2:3], s[0:1]
	v_add_co_u32 v4, vcc_lo, v16, s4
	v_add_co_ci_u32_e32 v5, vcc_lo, s3, v17, vcc_lo
	v_add_co_u32 v16, vcc_lo, 0x2000, v22
	v_add_co_ci_u32_e32 v17, vcc_lo, 0, v23, vcc_lo
	;; [unrolled: 2-line block ×3, first 2 shown]
	global_store_dwordx4 v[4:5], v[0:3], off
	global_load_dwordx4 v[0:3], v[16:17], off offset:432
	s_waitcnt vmcnt(0) lgkmcnt(0)
	v_mul_f64 v[6:7], v[10:11], v[2:3]
	v_mul_f64 v[2:3], v[8:9], v[2:3]
	v_fma_f64 v[6:7], v[8:9], v[0:1], v[6:7]
	v_fma_f64 v[2:3], v[0:1], v[10:11], -v[2:3]
	v_mul_f64 v[0:1], v[6:7], s[0:1]
	v_mul_f64 v[2:3], v[2:3], s[0:1]
	global_store_dwordx4 v[18:19], v[0:3], off
	global_load_dwordx4 v[0:3], v[16:17], off offset:1216
	ds_read_b128 v[4:7], v255 offset:9408
	ds_read_b128 v[8:11], v255 offset:10192
	s_waitcnt vmcnt(0) lgkmcnt(1)
	v_mul_f64 v[20:21], v[6:7], v[2:3]
	v_mul_f64 v[2:3], v[4:5], v[2:3]
	v_fma_f64 v[4:5], v[4:5], v[0:1], v[20:21]
	v_fma_f64 v[2:3], v[0:1], v[6:7], -v[2:3]
	v_mul_f64 v[0:1], v[4:5], s[0:1]
	v_mul_f64 v[2:3], v[2:3], s[0:1]
	v_add_co_u32 v4, vcc_lo, v18, s4
	v_add_co_ci_u32_e32 v5, vcc_lo, s3, v19, vcc_lo
	global_store_dwordx4 v[4:5], v[0:3], off
	global_load_dwordx4 v[0:3], v[16:17], off offset:2000
	v_add_co_u32 v16, vcc_lo, v4, s4
	v_add_co_ci_u32_e32 v17, vcc_lo, s3, v5, vcc_lo
	v_add_co_u32 v18, vcc_lo, 0x2800, v22
	v_add_co_ci_u32_e32 v19, vcc_lo, 0, v23, vcc_lo
	s_waitcnt vmcnt(0) lgkmcnt(0)
	v_mul_f64 v[6:7], v[10:11], v[2:3]
	v_mul_f64 v[2:3], v[8:9], v[2:3]
	v_fma_f64 v[6:7], v[8:9], v[0:1], v[6:7]
	v_fma_f64 v[2:3], v[0:1], v[10:11], -v[2:3]
	v_mul_f64 v[0:1], v[6:7], s[0:1]
	v_mul_f64 v[2:3], v[2:3], s[0:1]
	global_store_dwordx4 v[16:17], v[0:3], off
	global_load_dwordx4 v[0:3], v[18:19], off offset:736
	ds_read_b128 v[4:7], v255 offset:10976
	ds_read_b128 v[8:11], v255 offset:11760
	s_waitcnt vmcnt(0) lgkmcnt(1)
	v_mul_f64 v[20:21], v[6:7], v[2:3]
	v_mul_f64 v[2:3], v[4:5], v[2:3]
	v_fma_f64 v[4:5], v[4:5], v[0:1], v[20:21]
	v_fma_f64 v[2:3], v[0:1], v[6:7], -v[2:3]
	v_mul_f64 v[0:1], v[4:5], s[0:1]
	v_mul_f64 v[2:3], v[2:3], s[0:1]
	v_add_co_u32 v4, vcc_lo, v16, s4
	v_add_co_ci_u32_e32 v5, vcc_lo, s3, v17, vcc_lo
	global_store_dwordx4 v[4:5], v[0:3], off
	global_load_dwordx4 v[0:3], v[18:19], off offset:1520
	v_add_co_u32 v4, vcc_lo, v4, s4
	v_add_co_ci_u32_e32 v5, vcc_lo, s3, v5, vcc_lo
	s_waitcnt vmcnt(0) lgkmcnt(0)
	v_mul_f64 v[6:7], v[10:11], v[2:3]
	v_mul_f64 v[2:3], v[8:9], v[2:3]
	v_fma_f64 v[6:7], v[8:9], v[0:1], v[6:7]
	v_fma_f64 v[2:3], v[0:1], v[10:11], -v[2:3]
	v_mul_f64 v[0:1], v[6:7], s[0:1]
	v_mul_f64 v[2:3], v[2:3], s[0:1]
	v_add_co_u32 v6, vcc_lo, 0x3000, v22
	v_add_co_ci_u32_e32 v7, vcc_lo, 0, v23, vcc_lo
	global_store_dwordx4 v[4:5], v[0:3], off
	global_load_dwordx4 v[0:3], v[6:7], off offset:256
	v_add_co_u32 v4, vcc_lo, v4, s4
	v_add_co_ci_u32_e32 v5, vcc_lo, s3, v5, vcc_lo
	s_waitcnt vmcnt(0)
	v_mul_f64 v[6:7], v[14:15], v[2:3]
	v_mul_f64 v[2:3], v[12:13], v[2:3]
	v_fma_f64 v[6:7], v[12:13], v[0:1], v[6:7]
	v_fma_f64 v[2:3], v[0:1], v[14:15], -v[2:3]
	v_mul_f64 v[0:1], v[6:7], s[0:1]
	v_mul_f64 v[2:3], v[2:3], s[0:1]
	global_store_dwordx4 v[4:5], v[0:3], off
.LBB0_15:
	s_endpgm
	.section	.rodata,"a",@progbits
	.p2align	6, 0x0
	.amdhsa_kernel bluestein_single_back_len833_dim1_dp_op_CI_CI
		.amdhsa_group_segment_fixed_size 13328
		.amdhsa_private_segment_fixed_size 540
		.amdhsa_kernarg_size 104
		.amdhsa_user_sgpr_count 6
		.amdhsa_user_sgpr_private_segment_buffer 1
		.amdhsa_user_sgpr_dispatch_ptr 0
		.amdhsa_user_sgpr_queue_ptr 0
		.amdhsa_user_sgpr_kernarg_segment_ptr 1
		.amdhsa_user_sgpr_dispatch_id 0
		.amdhsa_user_sgpr_flat_scratch_init 0
		.amdhsa_user_sgpr_private_segment_size 0
		.amdhsa_wavefront_size32 1
		.amdhsa_uses_dynamic_stack 0
		.amdhsa_system_sgpr_private_segment_wavefront_offset 1
		.amdhsa_system_sgpr_workgroup_id_x 1
		.amdhsa_system_sgpr_workgroup_id_y 0
		.amdhsa_system_sgpr_workgroup_id_z 0
		.amdhsa_system_sgpr_workgroup_info 0
		.amdhsa_system_vgpr_workitem_id 0
		.amdhsa_next_free_vgpr 256
		.amdhsa_next_free_sgpr 60
		.amdhsa_reserve_vcc 1
		.amdhsa_reserve_flat_scratch 0
		.amdhsa_float_round_mode_32 0
		.amdhsa_float_round_mode_16_64 0
		.amdhsa_float_denorm_mode_32 3
		.amdhsa_float_denorm_mode_16_64 3
		.amdhsa_dx10_clamp 1
		.amdhsa_ieee_mode 1
		.amdhsa_fp16_overflow 0
		.amdhsa_workgroup_processor_mode 1
		.amdhsa_memory_ordered 1
		.amdhsa_forward_progress 0
		.amdhsa_shared_vgpr_count 0
		.amdhsa_exception_fp_ieee_invalid_op 0
		.amdhsa_exception_fp_denorm_src 0
		.amdhsa_exception_fp_ieee_div_zero 0
		.amdhsa_exception_fp_ieee_overflow 0
		.amdhsa_exception_fp_ieee_underflow 0
		.amdhsa_exception_fp_ieee_inexact 0
		.amdhsa_exception_int_div_zero 0
	.end_amdhsa_kernel
	.text
.Lfunc_end0:
	.size	bluestein_single_back_len833_dim1_dp_op_CI_CI, .Lfunc_end0-bluestein_single_back_len833_dim1_dp_op_CI_CI
                                        ; -- End function
	.section	.AMDGPU.csdata,"",@progbits
; Kernel info:
; codeLenInByte = 25188
; NumSgprs: 62
; NumVgprs: 256
; ScratchSize: 540
; MemoryBound: 0
; FloatMode: 240
; IeeeMode: 1
; LDSByteSize: 13328 bytes/workgroup (compile time only)
; SGPRBlocks: 7
; VGPRBlocks: 31
; NumSGPRsForWavesPerEU: 62
; NumVGPRsForWavesPerEU: 256
; Occupancy: 4
; WaveLimiterHint : 1
; COMPUTE_PGM_RSRC2:SCRATCH_EN: 1
; COMPUTE_PGM_RSRC2:USER_SGPR: 6
; COMPUTE_PGM_RSRC2:TRAP_HANDLER: 0
; COMPUTE_PGM_RSRC2:TGID_X_EN: 1
; COMPUTE_PGM_RSRC2:TGID_Y_EN: 0
; COMPUTE_PGM_RSRC2:TGID_Z_EN: 0
; COMPUTE_PGM_RSRC2:TIDIG_COMP_CNT: 0
	.text
	.p2alignl 6, 3214868480
	.fill 48, 4, 3214868480
	.type	__hip_cuid_de45ea0475d3bc3c,@object ; @__hip_cuid_de45ea0475d3bc3c
	.section	.bss,"aw",@nobits
	.globl	__hip_cuid_de45ea0475d3bc3c
__hip_cuid_de45ea0475d3bc3c:
	.byte	0                               ; 0x0
	.size	__hip_cuid_de45ea0475d3bc3c, 1

	.ident	"AMD clang version 19.0.0git (https://github.com/RadeonOpenCompute/llvm-project roc-6.4.0 25133 c7fe45cf4b819c5991fe208aaa96edf142730f1d)"
	.section	".note.GNU-stack","",@progbits
	.addrsig
	.addrsig_sym __hip_cuid_de45ea0475d3bc3c
	.amdgpu_metadata
---
amdhsa.kernels:
  - .args:
      - .actual_access:  read_only
        .address_space:  global
        .offset:         0
        .size:           8
        .value_kind:     global_buffer
      - .actual_access:  read_only
        .address_space:  global
        .offset:         8
        .size:           8
        .value_kind:     global_buffer
      - .actual_access:  read_only
        .address_space:  global
        .offset:         16
        .size:           8
        .value_kind:     global_buffer
      - .actual_access:  read_only
        .address_space:  global
        .offset:         24
        .size:           8
        .value_kind:     global_buffer
      - .actual_access:  read_only
        .address_space:  global
        .offset:         32
        .size:           8
        .value_kind:     global_buffer
      - .offset:         40
        .size:           8
        .value_kind:     by_value
      - .address_space:  global
        .offset:         48
        .size:           8
        .value_kind:     global_buffer
      - .address_space:  global
        .offset:         56
        .size:           8
        .value_kind:     global_buffer
      - .address_space:  global
        .offset:         64
        .size:           8
        .value_kind:     global_buffer
      - .address_space:  global
        .offset:         72
        .size:           8
        .value_kind:     global_buffer
      - .offset:         80
        .size:           4
        .value_kind:     by_value
      - .address_space:  global
        .offset:         88
        .size:           8
        .value_kind:     global_buffer
      - .address_space:  global
        .offset:         96
        .size:           8
        .value_kind:     global_buffer
    .group_segment_fixed_size: 13328
    .kernarg_segment_align: 8
    .kernarg_segment_size: 104
    .language:       OpenCL C
    .language_version:
      - 2
      - 0
    .max_flat_workgroup_size: 119
    .name:           bluestein_single_back_len833_dim1_dp_op_CI_CI
    .private_segment_fixed_size: 540
    .sgpr_count:     62
    .sgpr_spill_count: 0
    .symbol:         bluestein_single_back_len833_dim1_dp_op_CI_CI.kd
    .uniform_work_group_size: 1
    .uses_dynamic_stack: false
    .vgpr_count:     256
    .vgpr_spill_count: 134
    .wavefront_size: 32
    .workgroup_processor_mode: 1
amdhsa.target:   amdgcn-amd-amdhsa--gfx1030
amdhsa.version:
  - 1
  - 2
...

	.end_amdgpu_metadata
